;; amdgpu-corpus repo=ROCm/rocFFT kind=compiled arch=gfx906 opt=O3
	.text
	.amdgcn_target "amdgcn-amd-amdhsa--gfx906"
	.amdhsa_code_object_version 6
	.protected	fft_rtc_fwd_len510_factors_17_2_3_5_wgs_238_tpt_34_halfLds_half_ip_CI_unitstride_sbrr_C2R_dirReg ; -- Begin function fft_rtc_fwd_len510_factors_17_2_3_5_wgs_238_tpt_34_halfLds_half_ip_CI_unitstride_sbrr_C2R_dirReg
	.globl	fft_rtc_fwd_len510_factors_17_2_3_5_wgs_238_tpt_34_halfLds_half_ip_CI_unitstride_sbrr_C2R_dirReg
	.p2align	8
	.type	fft_rtc_fwd_len510_factors_17_2_3_5_wgs_238_tpt_34_halfLds_half_ip_CI_unitstride_sbrr_C2R_dirReg,@function
fft_rtc_fwd_len510_factors_17_2_3_5_wgs_238_tpt_34_halfLds_half_ip_CI_unitstride_sbrr_C2R_dirReg: ; @fft_rtc_fwd_len510_factors_17_2_3_5_wgs_238_tpt_34_halfLds_half_ip_CI_unitstride_sbrr_C2R_dirReg
; %bb.0:
	s_load_dwordx2 s[12:13], s[4:5], 0x50
	s_load_dwordx4 s[8:11], s[4:5], 0x0
	s_load_dwordx2 s[2:3], s[4:5], 0x18
	v_mul_u32_u24_e32 v1, 0x788, v0
	v_lshrrev_b32_e32 v1, 16, v1
	v_mad_u64_u32 v[1:2], s[0:1], s6, 7, v[1:2]
	v_mov_b32_e32 v5, 0
	s_waitcnt lgkmcnt(0)
	v_cmp_lt_u64_e64 s[0:1], s[10:11], 2
	v_mov_b32_e32 v2, v5
	v_mov_b32_e32 v3, 0
	;; [unrolled: 1-line block ×3, first 2 shown]
	s_and_b64 vcc, exec, s[0:1]
	v_mov_b32_e32 v4, 0
	v_mov_b32_e32 v9, v1
	s_cbranch_vccnz .LBB0_8
; %bb.1:
	s_load_dwordx2 s[0:1], s[4:5], 0x10
	s_add_u32 s6, s2, 8
	s_addc_u32 s7, s3, 0
	v_mov_b32_e32 v3, 0
	v_mov_b32_e32 v8, v2
	s_waitcnt lgkmcnt(0)
	s_add_u32 s16, s0, 8
	s_mov_b64 s[14:15], 1
	v_mov_b32_e32 v4, 0
	s_addc_u32 s17, s1, 0
	v_mov_b32_e32 v7, v1
.LBB0_2:                                ; =>This Inner Loop Header: Depth=1
	s_load_dwordx2 s[18:19], s[16:17], 0x0
                                        ; implicit-def: $vgpr9_vgpr10
	s_waitcnt lgkmcnt(0)
	v_or_b32_e32 v6, s19, v8
	v_cmp_ne_u64_e32 vcc, 0, v[5:6]
	s_and_saveexec_b64 s[0:1], vcc
	s_xor_b64 s[20:21], exec, s[0:1]
	s_cbranch_execz .LBB0_4
; %bb.3:                                ;   in Loop: Header=BB0_2 Depth=1
	v_cvt_f32_u32_e32 v2, s18
	v_cvt_f32_u32_e32 v6, s19
	s_sub_u32 s0, 0, s18
	s_subb_u32 s1, 0, s19
	v_mac_f32_e32 v2, 0x4f800000, v6
	v_rcp_f32_e32 v2, v2
	v_mul_f32_e32 v2, 0x5f7ffffc, v2
	v_mul_f32_e32 v6, 0x2f800000, v2
	v_trunc_f32_e32 v6, v6
	v_mac_f32_e32 v2, 0xcf800000, v6
	v_cvt_u32_f32_e32 v6, v6
	v_cvt_u32_f32_e32 v2, v2
	v_mul_lo_u32 v9, s0, v6
	v_mul_hi_u32 v10, s0, v2
	v_mul_lo_u32 v12, s1, v2
	v_mul_lo_u32 v11, s0, v2
	v_add_u32_e32 v9, v10, v9
	v_add_u32_e32 v9, v9, v12
	v_mul_hi_u32 v10, v2, v11
	v_mul_lo_u32 v12, v2, v9
	v_mul_hi_u32 v14, v2, v9
	v_mul_hi_u32 v13, v6, v11
	v_mul_lo_u32 v11, v6, v11
	v_mul_hi_u32 v15, v6, v9
	v_add_co_u32_e32 v10, vcc, v10, v12
	v_addc_co_u32_e32 v12, vcc, 0, v14, vcc
	v_mul_lo_u32 v9, v6, v9
	v_add_co_u32_e32 v10, vcc, v10, v11
	v_addc_co_u32_e32 v10, vcc, v12, v13, vcc
	v_addc_co_u32_e32 v11, vcc, 0, v15, vcc
	v_add_co_u32_e32 v9, vcc, v10, v9
	v_addc_co_u32_e32 v10, vcc, 0, v11, vcc
	v_add_co_u32_e32 v2, vcc, v2, v9
	v_addc_co_u32_e32 v6, vcc, v6, v10, vcc
	v_mul_lo_u32 v9, s0, v6
	v_mul_hi_u32 v10, s0, v2
	v_mul_lo_u32 v11, s1, v2
	v_mul_lo_u32 v12, s0, v2
	v_add_u32_e32 v9, v10, v9
	v_add_u32_e32 v9, v9, v11
	v_mul_lo_u32 v13, v2, v9
	v_mul_hi_u32 v14, v2, v12
	v_mul_hi_u32 v15, v2, v9
	;; [unrolled: 1-line block ×3, first 2 shown]
	v_mul_lo_u32 v12, v6, v12
	v_mul_hi_u32 v10, v6, v9
	v_add_co_u32_e32 v13, vcc, v14, v13
	v_addc_co_u32_e32 v14, vcc, 0, v15, vcc
	v_mul_lo_u32 v9, v6, v9
	v_add_co_u32_e32 v12, vcc, v13, v12
	v_addc_co_u32_e32 v11, vcc, v14, v11, vcc
	v_addc_co_u32_e32 v10, vcc, 0, v10, vcc
	v_add_co_u32_e32 v9, vcc, v11, v9
	v_addc_co_u32_e32 v10, vcc, 0, v10, vcc
	v_add_co_u32_e32 v2, vcc, v2, v9
	v_addc_co_u32_e32 v6, vcc, v6, v10, vcc
	v_mad_u64_u32 v[9:10], s[0:1], v7, v6, 0
	v_mul_hi_u32 v11, v7, v2
	v_add_co_u32_e32 v13, vcc, v11, v9
	v_addc_co_u32_e32 v14, vcc, 0, v10, vcc
	v_mad_u64_u32 v[9:10], s[0:1], v8, v2, 0
	v_mad_u64_u32 v[11:12], s[0:1], v8, v6, 0
	v_add_co_u32_e32 v2, vcc, v13, v9
	v_addc_co_u32_e32 v2, vcc, v14, v10, vcc
	v_addc_co_u32_e32 v6, vcc, 0, v12, vcc
	v_add_co_u32_e32 v2, vcc, v2, v11
	v_addc_co_u32_e32 v6, vcc, 0, v6, vcc
	v_mul_lo_u32 v11, s19, v2
	v_mul_lo_u32 v12, s18, v6
	v_mad_u64_u32 v[9:10], s[0:1], s18, v2, 0
	v_add3_u32 v10, v10, v12, v11
	v_sub_u32_e32 v11, v8, v10
	v_mov_b32_e32 v12, s19
	v_sub_co_u32_e32 v9, vcc, v7, v9
	v_subb_co_u32_e64 v11, s[0:1], v11, v12, vcc
	v_subrev_co_u32_e64 v12, s[0:1], s18, v9
	v_subbrev_co_u32_e64 v11, s[0:1], 0, v11, s[0:1]
	v_cmp_le_u32_e64 s[0:1], s19, v11
	v_cndmask_b32_e64 v13, 0, -1, s[0:1]
	v_cmp_le_u32_e64 s[0:1], s18, v12
	v_cndmask_b32_e64 v12, 0, -1, s[0:1]
	v_cmp_eq_u32_e64 s[0:1], s19, v11
	v_cndmask_b32_e64 v11, v13, v12, s[0:1]
	v_add_co_u32_e64 v12, s[0:1], 2, v2
	v_addc_co_u32_e64 v13, s[0:1], 0, v6, s[0:1]
	v_add_co_u32_e64 v14, s[0:1], 1, v2
	v_addc_co_u32_e64 v15, s[0:1], 0, v6, s[0:1]
	v_subb_co_u32_e32 v10, vcc, v8, v10, vcc
	v_cmp_ne_u32_e64 s[0:1], 0, v11
	v_cmp_le_u32_e32 vcc, s19, v10
	v_cndmask_b32_e64 v11, v15, v13, s[0:1]
	v_cndmask_b32_e64 v13, 0, -1, vcc
	v_cmp_le_u32_e32 vcc, s18, v9
	v_cndmask_b32_e64 v9, 0, -1, vcc
	v_cmp_eq_u32_e32 vcc, s19, v10
	v_cndmask_b32_e32 v9, v13, v9, vcc
	v_cmp_ne_u32_e32 vcc, 0, v9
	v_cndmask_b32_e32 v10, v6, v11, vcc
	v_cndmask_b32_e64 v6, v14, v12, s[0:1]
	v_cndmask_b32_e32 v9, v2, v6, vcc
.LBB0_4:                                ;   in Loop: Header=BB0_2 Depth=1
	s_andn2_saveexec_b64 s[0:1], s[20:21]
	s_cbranch_execz .LBB0_6
; %bb.5:                                ;   in Loop: Header=BB0_2 Depth=1
	v_cvt_f32_u32_e32 v2, s18
	s_sub_i32 s20, 0, s18
	v_rcp_iflag_f32_e32 v2, v2
	v_mul_f32_e32 v2, 0x4f7ffffe, v2
	v_cvt_u32_f32_e32 v2, v2
	v_mul_lo_u32 v6, s20, v2
	v_mul_hi_u32 v6, v2, v6
	v_add_u32_e32 v2, v2, v6
	v_mul_hi_u32 v2, v7, v2
	v_mul_lo_u32 v6, v2, s18
	v_add_u32_e32 v9, 1, v2
	v_sub_u32_e32 v6, v7, v6
	v_subrev_u32_e32 v10, s18, v6
	v_cmp_le_u32_e32 vcc, s18, v6
	v_cndmask_b32_e32 v6, v6, v10, vcc
	v_cndmask_b32_e32 v2, v2, v9, vcc
	v_add_u32_e32 v9, 1, v2
	v_cmp_le_u32_e32 vcc, s18, v6
	v_cndmask_b32_e32 v9, v2, v9, vcc
	v_mov_b32_e32 v10, v5
.LBB0_6:                                ;   in Loop: Header=BB0_2 Depth=1
	s_or_b64 exec, exec, s[0:1]
	v_mul_lo_u32 v2, v10, s18
	v_mul_lo_u32 v6, v9, s19
	v_mad_u64_u32 v[11:12], s[0:1], v9, s18, 0
	s_load_dwordx2 s[0:1], s[6:7], 0x0
	s_add_u32 s14, s14, 1
	v_add3_u32 v2, v12, v6, v2
	v_sub_co_u32_e32 v6, vcc, v7, v11
	v_subb_co_u32_e32 v2, vcc, v8, v2, vcc
	s_waitcnt lgkmcnt(0)
	v_mul_lo_u32 v2, s0, v2
	v_mul_lo_u32 v7, s1, v6
	v_mad_u64_u32 v[3:4], s[0:1], s0, v6, v[3:4]
	s_addc_u32 s15, s15, 0
	s_add_u32 s6, s6, 8
	v_add3_u32 v4, v7, v4, v2
	v_mov_b32_e32 v6, s10
	v_mov_b32_e32 v7, s11
	s_addc_u32 s7, s7, 0
	v_cmp_ge_u64_e32 vcc, s[14:15], v[6:7]
	s_add_u32 s16, s16, 8
	s_addc_u32 s17, s17, 0
	s_cbranch_vccnz .LBB0_8
; %bb.7:                                ;   in Loop: Header=BB0_2 Depth=1
	v_mov_b32_e32 v7, v9
	v_mov_b32_e32 v8, v10
	s_branch .LBB0_2
.LBB0_8:
	s_lshl_b64 s[0:1], s[10:11], 3
	s_add_u32 s0, s2, s0
	s_addc_u32 s1, s3, s1
	s_load_dwordx2 s[2:3], s[0:1], 0x0
	s_load_dwordx2 s[6:7], s[4:5], 0x20
	s_mov_b32 s0, 0x24924925
	v_mul_hi_u32 v5, v1, s0
	s_waitcnt lgkmcnt(0)
	v_mad_u64_u32 v[2:3], s[0:1], s2, v9, v[3:4]
	v_sub_u32_e32 v4, v1, v5
	v_lshrrev_b32_e32 v4, 1, v4
	v_add_u32_e32 v4, v4, v5
	v_lshrrev_b32_e32 v4, 2, v4
	v_mul_lo_u32 v6, s2, v10
	v_mul_lo_u32 v7, s3, v9
	;; [unrolled: 1-line block ×3, first 2 shown]
	s_mov_b32 s0, 0x7878788
	v_mul_hi_u32 v5, v0, s0
	v_add3_u32 v3, v7, v3, v6
	v_sub_u32_e32 v1, v1, v4
	v_mul_u32_u24_e32 v7, 0x1ff, v1
	v_cmp_gt_u64_e32 vcc, s[6:7], v[9:10]
	v_mul_u32_u24_e32 v1, 34, v5
	v_lshlrev_b64 v[2:3], 2, v[2:3]
	v_sub_u32_e32 v0, v0, v1
	v_lshlrev_b32_e32 v24, 2, v7
	s_and_saveexec_b64 s[2:3], vcc
	s_cbranch_execz .LBB0_12
; %bb.9:
	v_mov_b32_e32 v1, 0
	v_mov_b32_e32 v5, s13
	v_add_co_u32_e64 v4, s[0:1], s12, v2
	v_lshlrev_b64 v[8:9], 2, v[0:1]
	v_addc_co_u32_e64 v5, s[0:1], v5, v3, s[0:1]
	v_add_co_u32_e64 v8, s[0:1], v4, v8
	v_addc_co_u32_e64 v9, s[0:1], v5, v9, s[0:1]
	global_load_dword v6, v[8:9], off
	global_load_dword v10, v[8:9], off offset:136
	global_load_dword v11, v[8:9], off offset:272
	;; [unrolled: 1-line block ×14, first 2 shown]
	v_lshlrev_b32_e32 v1, 2, v0
	v_add3_u32 v1, 0, v24, v1
	v_cmp_eq_u32_e64 s[0:1], 33, v0
	v_add_u32_e32 v8, 0x400, v1
	s_waitcnt vmcnt(13)
	ds_write2_b32 v1, v6, v10 offset1:34
	s_waitcnt vmcnt(11)
	ds_write2_b32 v1, v11, v12 offset0:68 offset1:102
	s_waitcnt vmcnt(9)
	ds_write2_b32 v1, v13, v14 offset0:136 offset1:170
	;; [unrolled: 2-line block ×6, first 2 shown]
	s_waitcnt vmcnt(0)
	ds_write_b32 v1, v23 offset:1904
	s_and_saveexec_b64 s[4:5], s[0:1]
	s_cbranch_execz .LBB0_11
; %bb.10:
	global_load_dword v0, v[4:5], off offset:2040
	s_waitcnt vmcnt(0)
	ds_write_b32 v1, v0 offset:1908
	v_mov_b32_e32 v0, 33
.LBB0_11:
	s_or_b64 exec, exec, s[4:5]
.LBB0_12:
	s_or_b64 exec, exec, s[2:3]
	v_lshl_add_u32 v23, v7, 2, 0
	v_lshlrev_b32_e32 v4, 2, v0
	v_add_u32_e32 v25, v23, v4
	s_waitcnt lgkmcnt(0)
	s_barrier
	v_sub_u32_e32 v8, v23, v4
	ds_read_u16 v11, v25
	ds_read_u16 v12, v8 offset:2040
	v_cmp_ne_u32_e64 s[0:1], 0, v0
                                        ; implicit-def: $vgpr5_vgpr6
	s_waitcnt lgkmcnt(0)
	v_add_f16_e32 v9, v12, v11
	v_sub_f16_e32 v10, v11, v12
	s_and_saveexec_b64 s[2:3], s[0:1]
	s_xor_b64 s[2:3], exec, s[2:3]
	s_cbranch_execz .LBB0_14
; %bb.13:
	v_mov_b32_e32 v1, 0
	v_lshlrev_b64 v[5:6], 2, v[0:1]
	v_mov_b32_e32 v9, s9
	v_add_co_u32_e64 v5, s[0:1], s8, v5
	v_addc_co_u32_e64 v6, s[0:1], v9, v6, s[0:1]
	global_load_dword v5, v[5:6], off offset:1972
	ds_read_u16 v6, v8 offset:2042
	ds_read_u16 v9, v25 offset:2
	v_add_f16_e32 v10, v12, v11
	v_sub_f16_e32 v11, v11, v12
	s_waitcnt lgkmcnt(0)
	v_add_f16_e32 v12, v6, v9
	v_sub_f16_e32 v6, v9, v6
	s_waitcnt vmcnt(0)
	v_lshrrev_b32_e32 v9, 16, v5
	v_fma_f16 v13, v11, v9, v10
	v_fma_f16 v14, v12, v9, v6
	v_fma_f16 v15, -v11, v9, v10
	v_fma_f16 v6, v12, v9, -v6
	v_fma_f16 v9, -v5, v12, v13
	v_fma_f16 v10, v11, v5, v14
	v_fma_f16 v12, v5, v12, v15
	;; [unrolled: 1-line block ×3, first 2 shown]
	v_pack_b32_f16 v5, v12, v5
	ds_write_b32 v8, v5 offset:2040
	v_mov_b32_e32 v6, v1
	v_mov_b32_e32 v5, v0
.LBB0_14:
	s_andn2_saveexec_b64 s[0:1], s[2:3]
	s_cbranch_execz .LBB0_16
; %bb.15:
	ds_read_b32 v1, v23 offset:1020
	s_mov_b32 s2, 0xc0004000
	v_mov_b32_e32 v5, 0
	v_mov_b32_e32 v6, 0
	s_waitcnt lgkmcnt(0)
	v_pk_mul_f16 v1, v1, s2
	ds_write_b32 v23, v1 offset:1020
.LBB0_16:
	s_or_b64 exec, exec, s[0:1]
	s_add_u32 s0, s8, 0x7b4
	v_lshlrev_b64 v[5:6], 2, v[5:6]
	s_addc_u32 s1, s9, 0
	v_mov_b32_e32 v1, s1
	v_add_co_u32_e64 v5, s[0:1], s0, v5
	v_addc_co_u32_e64 v6, s[0:1], v1, v6, s[0:1]
	global_load_dword v1, v[5:6], off offset:136
	global_load_dword v11, v[5:6], off offset:272
	;; [unrolled: 1-line block ×4, first 2 shown]
	s_mov_b32 s0, 0x5040100
	v_perm_b32 v9, v10, v9, s0
	ds_write_b32 v25, v9
	ds_read_b32 v9, v25 offset:136
	ds_read_b32 v10, v8 offset:1904
	global_load_dword v14, v[5:6], off offset:680
	global_load_dword v15, v[5:6], off offset:816
	v_cmp_gt_u32_e64 s[0:1], 17, v0
	s_waitcnt lgkmcnt(0)
	v_add_f16_e32 v16, v9, v10
	v_add_f16_sdwa v17, v10, v9 dst_sel:DWORD dst_unused:UNUSED_PAD src0_sel:WORD_1 src1_sel:WORD_1
	v_sub_f16_e32 v18, v9, v10
	v_sub_f16_sdwa v9, v9, v10 dst_sel:DWORD dst_unused:UNUSED_PAD src0_sel:WORD_1 src1_sel:WORD_1
	s_waitcnt vmcnt(5)
	v_lshrrev_b32_e32 v10, 16, v1
	v_fma_f16 v19, v18, v10, v16
	v_fma_f16 v20, v17, v10, v9
	v_fma_f16 v16, -v18, v10, v16
	v_fma_f16 v9, v17, v10, -v9
	v_fma_f16 v10, -v1, v17, v19
	v_fma_f16 v19, v18, v1, v20
	v_fma_f16 v16, v1, v17, v16
	v_fma_f16 v1, v18, v1, v9
	v_pack_b32_f16 v9, v10, v19
	v_pack_b32_f16 v1, v16, v1
	ds_write_b32 v25, v9 offset:136
	ds_write_b32 v8, v1 offset:1904
	ds_read_b32 v1, v25 offset:272
	ds_read_b32 v9, v8 offset:1768
	s_waitcnt vmcnt(4)
	v_lshrrev_b32_e32 v10, 16, v11
	s_waitcnt lgkmcnt(0)
	v_add_f16_e32 v16, v1, v9
	v_add_f16_sdwa v17, v9, v1 dst_sel:DWORD dst_unused:UNUSED_PAD src0_sel:WORD_1 src1_sel:WORD_1
	v_sub_f16_e32 v18, v1, v9
	v_sub_f16_sdwa v1, v1, v9 dst_sel:DWORD dst_unused:UNUSED_PAD src0_sel:WORD_1 src1_sel:WORD_1
	v_fma_f16 v9, v18, v10, v16
	v_fma_f16 v19, v17, v10, v1
	v_fma_f16 v16, -v18, v10, v16
	v_fma_f16 v1, v17, v10, -v1
	v_fma_f16 v9, -v11, v17, v9
	v_fma_f16 v10, v18, v11, v19
	v_fma_f16 v16, v11, v17, v16
	v_fma_f16 v1, v18, v11, v1
	v_pack_b32_f16 v9, v9, v10
	v_pack_b32_f16 v1, v16, v1
	ds_write_b32 v25, v9 offset:272
	ds_write_b32 v8, v1 offset:1768
	ds_read_b32 v1, v25 offset:408
	ds_read_b32 v9, v8 offset:1632
	s_waitcnt vmcnt(3)
	v_lshrrev_b32_e32 v10, 16, v12
	s_waitcnt lgkmcnt(0)
	v_add_f16_e32 v11, v1, v9
	v_add_f16_sdwa v16, v9, v1 dst_sel:DWORD dst_unused:UNUSED_PAD src0_sel:WORD_1 src1_sel:WORD_1
	v_sub_f16_e32 v17, v1, v9
	v_sub_f16_sdwa v1, v1, v9 dst_sel:DWORD dst_unused:UNUSED_PAD src0_sel:WORD_1 src1_sel:WORD_1
	;; [unrolled: 21-line block ×5, first 2 shown]
	v_fma_f16 v9, v13, v10, v11
	v_fma_f16 v14, v12, v10, v1
	v_fma_f16 v11, -v13, v10, v11
	v_fma_f16 v1, v12, v10, -v1
	v_fma_f16 v9, -v15, v12, v9
	v_fma_f16 v10, v13, v15, v14
	v_fma_f16 v11, v15, v12, v11
	;; [unrolled: 1-line block ×3, first 2 shown]
	v_pack_b32_f16 v9, v9, v10
	v_pack_b32_f16 v1, v11, v1
	ds_write_b32 v25, v9 offset:816
	ds_write_b32 v8, v1 offset:1224
	s_and_saveexec_b64 s[2:3], s[0:1]
	s_cbranch_execz .LBB0_18
; %bb.17:
	global_load_dword v1, v[5:6], off offset:952
	ds_read_b32 v5, v25 offset:952
	ds_read_b32 v6, v8 offset:1088
	s_waitcnt lgkmcnt(0)
	v_add_f16_e32 v9, v5, v6
	v_add_f16_sdwa v10, v6, v5 dst_sel:DWORD dst_unused:UNUSED_PAD src0_sel:WORD_1 src1_sel:WORD_1
	v_sub_f16_e32 v11, v5, v6
	v_sub_f16_sdwa v5, v5, v6 dst_sel:DWORD dst_unused:UNUSED_PAD src0_sel:WORD_1 src1_sel:WORD_1
	s_waitcnt vmcnt(0)
	v_lshrrev_b32_e32 v6, 16, v1
	v_fma_f16 v12, v11, v6, v9
	v_fma_f16 v13, v10, v6, v5
	v_fma_f16 v9, -v11, v6, v9
	v_fma_f16 v5, v10, v6, -v5
	v_fma_f16 v6, -v1, v10, v12
	v_fma_f16 v12, v11, v1, v13
	v_fma_f16 v9, v1, v10, v9
	;; [unrolled: 1-line block ×3, first 2 shown]
	v_pack_b32_f16 v5, v6, v12
	v_pack_b32_f16 v1, v9, v1
	ds_write_b32 v25, v5 offset:952
	ds_write_b32 v8, v1 offset:1088
.LBB0_18:
	s_or_b64 exec, exec, s[2:3]
	v_lshl_add_u32 v26, v0, 2, 0
	v_lshl_add_u32 v1, v7, 2, v26
	s_waitcnt lgkmcnt(0)
	s_barrier
	s_barrier
	ds_read2_b32 v[9:10], v1 offset0:30 offset1:60
	v_add_u32_e32 v29, 0x400, v1
	ds_read2_b32 v[7:8], v29 offset0:194 offset1:224
	ds_read_b32 v37, v25
	s_mov_b32 s19, 0xb964
	s_movk_i32 s6, 0x39e9
	s_mov_b32 s21, 0xbbf7
	s_waitcnt lgkmcnt(1)
	v_pk_add_f16 v30, v9, v8 neg_lo:[0,1] neg_hi:[0,1]
	v_pk_add_f16 v32, v8, v9
	v_mul_f16_sdwa v50, v30, s19 dst_sel:DWORD dst_unused:UNUSED_PAD src0_sel:WORD_1 src1_sel:DWORD
	v_pk_add_f16 v31, v10, v7 neg_lo:[0,1] neg_hi:[0,1]
	v_fma_f16 v5, v32, s6, v50
	v_pk_add_f16 v33, v7, v10
	s_movk_i32 s10, 0x2de8
	v_mul_f16_sdwa v52, v31, s21 dst_sel:DWORD dst_unused:UNUSED_PAD src0_sel:WORD_1 src1_sel:DWORD
	s_waitcnt lgkmcnt(0)
	v_add_f16_e32 v5, v37, v5
	v_fma_f16 v11, v33, s10, v52
	v_add_f16_e32 v5, v11, v5
	ds_read2_b32 v[11:12], v29 offset0:134 offset1:164
	ds_read2_b32 v[13:14], v1 offset0:90 offset1:120
	v_lshrrev_b32_e32 v41, 16, v32
	s_movk_i32 s7, 0x3722
	v_mul_f16_e32 v55, 0xbb29, v30
	v_fma_f16 v6, v41, s7, -v55
	v_lshrrev_b32_e32 v44, 16, v33
	s_mov_b32 s14, 0xb8d2
	s_mov_b32 s11, 0xba62
	v_mul_f16_e32 v59, 0xba62, v31
	s_waitcnt lgkmcnt(0)
	v_pk_add_f16 v34, v13, v12 neg_lo:[0,1] neg_hi:[0,1]
	v_add_f16_sdwa v6, v37, v6 dst_sel:DWORD dst_unused:UNUSED_PAD src0_sel:WORD_1 src1_sel:DWORD
	v_fma_f16 v15, v44, s14, -v59
	v_pk_add_f16 v36, v12, v13
	v_mul_f16_sdwa v56, v34, s11 dst_sel:DWORD dst_unused:UNUSED_PAD src0_sel:WORD_1 src1_sel:DWORD
	v_add_f16_e32 v6, v15, v6
	v_fma_f16 v15, v36, s14, v56
	s_mov_b32 s16, 0xbbdd
	v_lshrrev_b32_e32 v47, 16, v36
	v_mul_f16_e32 v60, 0x31e1, v34
	s_mov_b32 s15, 0xb1e1
	v_pk_add_f16 v35, v14, v11 neg_lo:[0,1] neg_hi:[0,1]
	v_add_f16_e32 v5, v15, v5
	v_fma_f16 v15, v47, s16, -v60
	v_pk_add_f16 v38, v11, v14
	v_mul_f16_sdwa v57, v35, s15 dst_sel:DWORD dst_unused:UNUSED_PAD src0_sel:WORD_1 src1_sel:DWORD
	v_add_f16_e32 v6, v15, v6
	v_fma_f16 v15, v38, s16, v57
	v_add_f16_e32 v5, v15, v5
	ds_read2_b32 v[15:16], v29 offset0:74 offset1:104
	ds_read2_b32 v[17:18], v1 offset0:150 offset1:180
	s_mov_b32 s17, 0xb461
	v_lshrrev_b32_e32 v49, 16, v38
	v_mul_f16_e32 v62, 0x3bb2, v35
	s_movk_i32 s29, 0x3836
	s_waitcnt lgkmcnt(0)
	v_pk_add_f16 v39, v17, v16 neg_lo:[0,1] neg_hi:[0,1]
	v_fma_f16 v19, v49, s17, -v62
	s_mov_b32 s18, 0xbacd
	v_pk_add_f16 v42, v16, v17
	v_mul_f16_sdwa v61, v39, s29 dst_sel:DWORD dst_unused:UNUSED_PAD src0_sel:WORD_1 src1_sel:DWORD
	v_add_f16_e32 v6, v19, v6
	v_fma_f16 v19, v42, s18, v61
	v_lshrrev_b32_e32 v53, 16, v42
	v_mul_f16_e32 v65, 0x3964, v39
	s_movk_i32 s27, 0x3bb2
	v_pk_add_f16 v40, v18, v15 neg_lo:[0,1] neg_hi:[0,1]
	v_add_f16_e32 v5, v19, v5
	v_fma_f16 v19, v53, s6, -v65
	v_pk_add_f16 v43, v15, v18
	v_mul_f16_sdwa v63, v40, s27 dst_sel:DWORD dst_unused:UNUSED_PAD src0_sel:WORD_1 src1_sel:DWORD
	v_add_f16_e32 v6, v19, v6
	v_fma_f16 v19, v43, s17, v63
	v_add_f16_e32 v5, v19, v5
	ds_read2_b32 v[21:22], v1 offset0:210 offset1:240
	ds_read2_b32 v[19:20], v29 offset0:14 offset1:44
	s_movk_i32 s22, 0x3b76
	v_lshrrev_b32_e32 v54, 16, v43
	v_mul_f16_e32 v68, 0xb5c8, v40
	s_movk_i32 s20, 0x3b29
	s_waitcnt lgkmcnt(0)
	v_pk_add_f16 v45, v21, v20 neg_lo:[0,1] neg_hi:[0,1]
	v_fma_f16 v27, v54, s22, -v68
	v_pk_add_f16 v46, v20, v21
	v_mul_f16_sdwa v66, v45, s20 dst_sel:DWORD dst_unused:UNUSED_PAD src0_sel:WORD_1 src1_sel:DWORD
	v_add_f16_e32 v6, v27, v6
	v_fma_f16 v27, v46, s7, v66
	v_lshrrev_b32_e32 v58, 16, v46
	v_mul_f16_e32 v70, 0xbbf7, v45
	v_pk_add_f16 v51, v19, v22
	v_pk_add_f16 v48, v22, v19 neg_lo:[0,1] neg_hi:[0,1]
	v_add_f16_e32 v5, v27, v5
	v_fma_f16 v27, v58, s10, -v70
	s_mov_b32 s2, 0x39e93722
	s_movk_i32 s23, 0x35c8
	v_lshrrev_b32_e32 v67, 16, v51
	v_mul_f16_e32 v80, 0xb836, v48
	v_add_f16_e32 v27, v27, v6
	s_mov_b32 s3, 0xbb29b964
	s_mov_b32 s4, 0x2de8b8d2
	v_mul_f16_sdwa v69, v48, s23 dst_sel:DWORD dst_unused:UNUSED_PAD src0_sel:WORD_1 src1_sel:DWORD
	v_pk_mul_f16 v28, v32, s2
	v_fma_f16 v79, v67, s18, -v80
	s_mov_b32 s5, 0xba62bbf7
	s_mov_b32 s24, 0xb8d2bbdd
	v_fma_f16 v6, v51, s22, v69
	v_pk_fma_f16 v71, v30, s3, v28 op_sel:[0,0,1] op_sel_hi:[1,1,0]
	v_pk_mul_f16 v64, v33, s4
	v_add_f16_e32 v27, v79, v27
	v_pk_fma_f16 v79, v30, s3, v28 op_sel:[0,0,1] op_sel_hi:[1,1,0] neg_lo:[1,0,0] neg_hi:[1,0,0]
	s_mov_b32 s25, 0x31e1ba62
	s_mov_b32 s26, 0xbbddb461
	v_add_f16_e32 v6, v6, v5
	v_pk_fma_f16 v72, v31, s5, v64 op_sel:[0,0,1] op_sel_hi:[1,1,0]
	v_add_f16_sdwa v5, v37, v71 dst_sel:DWORD dst_unused:UNUSED_PAD src0_sel:DWORD src1_sel:WORD_1
	v_pk_mul_f16 v82, v36, s24
	v_pk_fma_f16 v81, v31, s5, v64 op_sel:[0,0,1] op_sel_hi:[1,1,0] neg_lo:[1,0,0] neg_hi:[1,0,0]
	v_add_f16_sdwa v28, v37, v79 dst_sel:DWORD dst_unused:UNUSED_PAD src0_sel:WORD_1 src1_sel:DWORD
	s_mov_b32 s28, 0x3bb2b1e1
	s_mov_b32 s30, 0xbacd39e9
	v_add_f16_sdwa v5, v72, v5 dst_sel:DWORD dst_unused:UNUSED_PAD src0_sel:WORD_1 src1_sel:DWORD
	v_pk_fma_f16 v73, v34, s25, v82 op_sel:[0,0,1] op_sel_hi:[1,1,0]
	v_pk_mul_f16 v83, v38, s26
	v_pk_fma_f16 v82, v34, s25, v82 op_sel:[0,0,1] op_sel_hi:[1,1,0] neg_lo:[1,0,0] neg_hi:[1,0,0]
	v_add_f16_e32 v28, v81, v28
	s_mov_b32 s33, 0x39643836
	s_mov_b32 s31, 0xb4613b76
	v_add_f16_sdwa v5, v73, v5 dst_sel:DWORD dst_unused:UNUSED_PAD src0_sel:WORD_1 src1_sel:DWORD
	v_pk_fma_f16 v74, v35, s28, v83 op_sel:[0,0,1] op_sel_hi:[1,1,0]
	v_pk_mul_f16 v84, v42, s30
	v_pk_fma_f16 v83, v35, s28, v83 op_sel:[0,0,1] op_sel_hi:[1,1,0] neg_lo:[1,0,0] neg_hi:[1,0,0]
	v_add_f16_e32 v28, v82, v28
	;; [unrolled: 7-line block ×4, first 2 shown]
	s_mov_b32 s38, 0xb83635c8
	v_add_f16_sdwa v5, v76, v5 dst_sel:DWORD dst_unused:UNUSED_PAD src0_sel:WORD_1 src1_sel:DWORD
	v_pk_fma_f16 v77, v45, s36, v86 op_sel:[0,0,1] op_sel_hi:[1,1,0]
	v_pk_mul_f16 v87, v51, s37
	v_pk_fma_f16 v86, v45, s36, v86 op_sel:[0,0,1] op_sel_hi:[1,1,0] neg_lo:[1,0,0] neg_hi:[1,0,0]
	v_add_f16_e32 v28, v85, v28
	v_add_f16_sdwa v5, v77, v5 dst_sel:DWORD dst_unused:UNUSED_PAD src0_sel:WORD_1 src1_sel:DWORD
	v_pk_fma_f16 v78, v48, s38, v87 op_sel:[0,0,1] op_sel_hi:[1,1,0]
	v_pk_fma_f16 v87, v48, s38, v87 op_sel:[0,0,1] op_sel_hi:[1,1,0] neg_lo:[1,0,0] neg_hi:[1,0,0]
	v_add_f16_e32 v28, v86, v28
	v_add_f16_sdwa v5, v78, v5 dst_sel:DWORD dst_unused:UNUSED_PAD src0_sel:WORD_1 src1_sel:DWORD
	s_mov_b32 s26, 0xbb29
	s_movk_i32 s31, 0x31e1
	s_movk_i32 s24, 0x3964
	s_mov_b32 s28, 0xb5c8
	v_add_f16_e32 v28, v87, v28
	s_mov_b32 s25, 0xb836
	v_cmp_gt_u32_e64 s[2:3], 30, v0
	s_barrier
	s_and_saveexec_b64 s[4:5], s[2:3]
	s_cbranch_execz .LBB0_20
; %bb.19:
	v_mul_f16_e32 v88, 0x2de8, v41
	s_movk_i32 s2, 0x3bf7
	v_fma_f16 v64, v30, s2, v88
	v_mul_f16_e32 v89, 0xbbdd, v44
	v_add_f16_sdwa v64, v37, v64 dst_sel:DWORD dst_unused:UNUSED_PAD src0_sel:WORD_1 src1_sel:DWORD
	v_fma_f16 v90, v31, s31, v89
	v_add_f16_e32 v64, v90, v64
	v_mul_f16_e32 v90, 0xb461, v47
	s_mov_b32 s3, 0xbbb2
	v_fma_f16 v91, v34, s3, v90
	v_add_f16_e32 v64, v91, v64
	v_mul_f16_e32 v91, 0x3b76, v49
	v_fma_f16 v92, v35, s28, v91
	v_add_f16_e32 v64, v92, v64
	v_mul_f16_e32 v92, 0x3722, v53
	;; [unrolled: 3-line block ×5, first 2 shown]
	v_fma_f16 v96, v48, s19, v95
	v_add_f16_e32 v64, v96, v64
	v_mul_f16_sdwa v96, v30, s21 dst_sel:DWORD dst_unused:UNUSED_PAD src0_sel:WORD_1 src1_sel:DWORD
	v_fma_f16 v97, v32, s10, v96
	v_mul_f16_sdwa v98, v31, s15 dst_sel:DWORD dst_unused:UNUSED_PAD src0_sel:WORD_1 src1_sel:DWORD
	v_add_f16_e32 v97, v37, v97
	v_fma_f16 v99, v33, s16, v98
	v_add_f16_e32 v97, v99, v97
	v_mul_f16_sdwa v99, v34, s27 dst_sel:DWORD dst_unused:UNUSED_PAD src0_sel:WORD_1 src1_sel:DWORD
	v_fma_f16 v100, v36, s17, v99
	v_add_f16_e32 v97, v100, v97
	v_mul_f16_sdwa v100, v35, s23 dst_sel:DWORD dst_unused:UNUSED_PAD src0_sel:WORD_1 src1_sel:DWORD
	;; [unrolled: 3-line block ×4, first 2 shown]
	v_fma_f16 v103, v43, s18, v102
	s_movk_i32 s30, 0x3a62
	v_add_f16_e32 v97, v103, v97
	v_mul_f16_sdwa v103, v45, s30 dst_sel:DWORD dst_unused:UNUSED_PAD src0_sel:WORD_1 src1_sel:DWORD
	v_fma_f16 v104, v46, s14, v103
	v_add_f16_e32 v97, v104, v97
	v_mul_f16_sdwa v104, v48, s24 dst_sel:DWORD dst_unused:UNUSED_PAD src0_sel:WORD_1 src1_sel:DWORD
	v_fma_f16 v105, v51, s6, v104
	v_add_f16_e32 v97, v105, v97
	v_mul_f16_e32 v105, 0xb461, v41
	v_fma_f16 v106, v30, s27, v105
	v_mul_f16_e32 v107, 0xbacd, v44
	v_add_f16_sdwa v106, v37, v106 dst_sel:DWORD dst_unused:UNUSED_PAD src0_sel:WORD_1 src1_sel:DWORD
	v_fma_f16 v108, v31, s25, v107
	v_add_f16_e32 v106, v108, v106
	v_mul_f16_e32 v108, 0x39e9, v47
	v_fma_f16 v109, v34, s19, v108
	v_add_f16_e32 v106, v109, v106
	v_mul_f16_e32 v109, 0x3722, v49
	;; [unrolled: 3-line block ×6, first 2 shown]
	v_fma_f16 v114, v48, s30, v113
	v_add_f16_e32 v106, v114, v106
	v_mul_f16_sdwa v114, v30, s3 dst_sel:DWORD dst_unused:UNUSED_PAD src0_sel:WORD_1 src1_sel:DWORD
	v_fma_f16 v115, v32, s17, v114
	v_mul_f16_sdwa v116, v31, s29 dst_sel:DWORD dst_unused:UNUSED_PAD src0_sel:WORD_1 src1_sel:DWORD
	v_add_f16_e32 v115, v37, v115
	v_fma_f16 v117, v33, s18, v116
	v_add_f16_e32 v115, v117, v115
	v_mul_f16_sdwa v117, v34, s24 dst_sel:DWORD dst_unused:UNUSED_PAD src0_sel:WORD_1 src1_sel:DWORD
	v_fma_f16 v118, v36, s6, v117
	v_add_f16_e32 v115, v118, v115
	v_mul_f16_sdwa v118, v35, s26 dst_sel:DWORD dst_unused:UNUSED_PAD src0_sel:WORD_1 src1_sel:DWORD
	;; [unrolled: 3-line block ×6, first 2 shown]
	v_fma_f16 v123, v51, s14, v122
	v_add_f16_e32 v115, v123, v115
	v_mul_f16_e32 v123, 0xb8d2, v41
	v_fma_f16 v124, v30, s30, v123
	v_mul_f16_e32 v125, 0xb461, v44
	v_add_f16_sdwa v124, v37, v124 dst_sel:DWORD dst_unused:UNUSED_PAD src0_sel:WORD_1 src1_sel:DWORD
	v_fma_f16 v126, v31, s3, v125
	v_add_f16_e32 v124, v126, v124
	v_mul_f16_e32 v126, 0x3b76, v47
	v_fma_f16 v127, v34, s23, v126
	v_add_f16_e32 v124, v127, v124
	v_mul_f16_e32 v127, 0xbacd, v49
	;; [unrolled: 3-line block ×6, first 2 shown]
	v_fma_f16 v105, v30, s3, v105
	v_fma_f16 v132, v48, s26, v131
	v_add_f16_sdwa v105, v37, v105 dst_sel:DWORD dst_unused:UNUSED_PAD src0_sel:WORD_1 src1_sel:DWORD
	v_fma_f16 v107, v31, s29, v107
	v_add_f16_e32 v124, v132, v124
	v_mul_f16_sdwa v132, v30, s11 dst_sel:DWORD dst_unused:UNUSED_PAD src0_sel:WORD_1 src1_sel:DWORD
	v_add_f16_e32 v105, v107, v105
	v_fma_f16 v107, v34, s24, v108
	v_fma_f16 v133, v32, s14, v132
	v_mul_f16_sdwa v134, v31, s27 dst_sel:DWORD dst_unused:UNUSED_PAD src0_sel:WORD_1 src1_sel:DWORD
	v_add_f16_e32 v105, v107, v105
	v_fma_f16 v107, v35, s26, v109
	v_add_f16_e32 v133, v37, v133
	v_fma_f16 v135, v33, s17, v134
	;; [unrolled: 2-line block ×3, first 2 shown]
	v_add_f16_e32 v133, v135, v133
	v_mul_f16_sdwa v135, v34, s28 dst_sel:DWORD dst_unused:UNUSED_PAD src0_sel:WORD_1 src1_sel:DWORD
	v_add_f16_e32 v105, v107, v105
	v_fma_f16 v107, v40, s2, v111
	v_fma_f16 v136, v36, s22, v135
	v_add_f16_e32 v105, v107, v105
	v_fma_f16 v107, v45, s28, v112
	v_add_f16_e32 v133, v136, v133
	v_mul_f16_sdwa v136, v35, s25 dst_sel:DWORD dst_unused:UNUSED_PAD src0_sel:WORD_1 src1_sel:DWORD
	v_add_f16_e32 v105, v107, v105
	v_fma_f16 v107, v48, s11, v113
	v_fma_f16 v137, v38, s18, v136
	v_add_f16_e32 v105, v107, v105
	v_fma_f16 v107, v32, s17, -v114
	v_add_f16_e32 v133, v137, v133
	v_mul_f16_sdwa v137, v39, s2 dst_sel:DWORD dst_unused:UNUSED_PAD src0_sel:WORD_1 src1_sel:DWORD
	v_add_f16_e32 v107, v37, v107
	v_fma_f16 v108, v33, s18, -v116
	v_fma_f16 v138, v42, s10, v137
	v_add_f16_e32 v107, v108, v107
	v_fma_f16 v109, v36, s6, -v117
	v_add_f16_e32 v133, v138, v133
	v_mul_f16_sdwa v138, v40, s19 dst_sel:DWORD dst_unused:UNUSED_PAD src0_sel:WORD_1 src1_sel:DWORD
	v_add_f16_e32 v107, v109, v107
	v_fma_f16 v110, v38, s7, -v118
	v_fma_f16 v88, v30, s21, v88
	v_fma_f16 v139, v43, s6, v138
	v_add_f16_e32 v107, v110, v107
	v_fma_f16 v111, v42, s16, -v119
	v_add_f16_sdwa v88, v37, v88 dst_sel:DWORD dst_unused:UNUSED_PAD src0_sel:WORD_1 src1_sel:DWORD
	v_fma_f16 v89, v31, s15, v89
	v_add_f16_e32 v133, v139, v133
	v_mul_f16_sdwa v139, v45, s15 dst_sel:DWORD dst_unused:UNUSED_PAD src0_sel:WORD_1 src1_sel:DWORD
	v_mul_f16_e32 v109, 0x39e9, v32
	v_add_f16_e32 v107, v111, v107
	v_fma_f16 v112, v43, s10, -v120
	v_add_f16_e32 v88, v89, v88
	v_fma_f16 v90, v34, s27, v90
	v_fma_f16 v140, v46, s16, v139
	v_mul_f16_e32 v111, 0x2de8, v33
	v_add_f16_e32 v107, v112, v107
	v_fma_f16 v113, v46, s22, -v121
	v_add_f16_e32 v88, v90, v88
	v_fma_f16 v91, v35, s23, v91
	v_sub_f16_e32 v50, v109, v50
	v_add_f16_e32 v133, v140, v133
	v_mul_f16_sdwa v140, v48, s20 dst_sel:DWORD dst_unused:UNUSED_PAD src0_sel:WORD_1 src1_sel:DWORD
	v_add_f16_e32 v107, v113, v107
	v_mul_f16_e32 v113, 0xb8d2, v36
	v_add_f16_e32 v88, v91, v88
	v_fma_f16 v92, v39, s26, v92
	v_add_f16_e32 v50, v37, v50
	v_sub_f16_e32 v52, v111, v52
	v_fma_f16 v141, v51, s7, v140
	v_mul_f16_e32 v89, 0xbbdd, v38
	v_add_f16_e32 v88, v92, v88
	v_fma_f16 v93, v40, s25, v93
	v_add_f16_e32 v50, v52, v50
	v_sub_f16_e32 v52, v113, v56
	v_add_f16_e32 v133, v141, v133
	v_mul_f16_e32 v141, 0xbacd, v41
	v_mul_f16_e32 v91, 0xbacd, v42
	v_add_f16_e32 v88, v93, v88
	v_fma_f16 v94, v45, s30, v94
	v_fma_f16 v96, v32, s10, -v96
	v_add_f16_e32 v50, v52, v50
	v_sub_f16_e32 v52, v89, v57
	v_fma_f16 v142, v30, s29, v141
	v_mul_f16_e32 v143, 0x3722, v44
	v_mul_f16_e32 v93, 0xb461, v43
	v_add_f16_e32 v88, v94, v88
	v_fma_f16 v95, v48, s24, v95
	v_add_f16_e32 v96, v37, v96
	v_fma_f16 v98, v33, s16, -v98
	v_add_f16_e32 v50, v52, v50
	v_sub_f16_e32 v52, v91, v61
	v_add_f16_sdwa v142, v37, v142 dst_sel:DWORD dst_unused:UNUSED_PAD src0_sel:WORD_1 src1_sel:DWORD
	v_fma_f16 v144, v31, s26, v143
	v_add_f16_e32 v88, v95, v88
	v_mul_f16_e32 v95, 0x3722, v46
	v_add_f16_e32 v96, v98, v96
	v_fma_f16 v99, v36, s17, -v99
	v_add_f16_e32 v50, v52, v50
	v_sub_f16_e32 v52, v93, v63
	v_add_f16_e32 v142, v144, v142
	v_mul_f16_e32 v144, 0x2de8, v47
	v_add_f16_e32 v96, v99, v96
	v_mul_f16_e32 v99, 0x3b76, v51
	v_add_f16_e32 v50, v52, v50
	v_sub_f16_e32 v52, v95, v66
	v_fma_f16 v145, v34, s2, v144
	v_add_f16_e32 v50, v52, v50
	v_sub_f16_e32 v52, v99, v69
	v_add_f16_e32 v142, v145, v142
	v_mul_f16_e32 v145, 0xb8d2, v49
	v_add_f16_e32 v50, v52, v50
	v_mul_f16_e32 v52, 0xb5c8, v30
	v_fma_f16 v146, v35, s11, v145
	v_fma_f16 v56, v41, s22, v52
	v_mul_f16_e32 v57, 0xb964, v31
	v_add_f16_e32 v142, v146, v142
	v_mul_f16_e32 v146, 0x3b76, v53
	v_add_f16_sdwa v56, v37, v56 dst_sel:DWORD dst_unused:UNUSED_PAD src0_sel:WORD_1 src1_sel:DWORD
	v_fma_f16 v61, v44, s6, v57
	v_fma_f16 v147, v39, s23, v146
	v_add_f16_e32 v56, v61, v56
	v_mul_f16_e32 v61, 0xbb29, v34
	v_add_f16_e32 v142, v147, v142
	v_mul_f16_e32 v147, 0xbbdd, v54
	v_fma_f16 v63, v47, s7, v61
	v_fma_f16 v148, v40, s31, v147
	v_add_f16_e32 v56, v63, v56
	v_mul_f16_e32 v63, 0xbbf7, v35
	v_add_f16_e32 v142, v148, v142
	v_mul_f16_e32 v148, 0x39e9, v58
	v_mul_f16_e32 v110, 0x3722, v41
	v_fma_f16 v66, v49, s10, v63
	v_fma_f16 v149, v45, s19, v148
	v_mul_f16_e32 v112, 0xb8d2, v44
	v_fma_f16 v114, v51, s14, -v122
	v_add_f16_e32 v55, v55, v110
	v_add_f16_e32 v56, v66, v56
	v_mul_f16_e32 v66, 0xbbb2, v39
	v_add_f16_e32 v142, v149, v142
	v_mul_f16_e32 v149, 0xb461, v67
	;; [unrolled: 2-line block ×3, first 2 shown]
	v_add_f16_sdwa v55, v37, v55 dst_sel:DWORD dst_unused:UNUSED_PAD src0_sel:WORD_1 src1_sel:DWORD
	v_add_f16_e32 v59, v59, v112
	v_fma_f16 v69, v53, s17, v66
	v_fma_f16 v150, v48, s27, v149
	;; [unrolled: 1-line block ×3, first 2 shown]
	v_mul_f16_e32 v90, 0xb461, v49
	v_add_f16_e32 v55, v59, v55
	v_add_f16_e32 v59, v60, v114
	s_mov_b32 s27, 0xffff
	v_add_f16_e32 v56, v69, v56
	v_mul_f16_e32 v69, 0xba62, v40
	v_add_f16_e32 v55, v59, v55
	v_add_f16_e32 v59, v62, v90
	v_bfi_b32 v62, s27, v73, v82
	v_fma_f16 v73, v54, s14, v69
	v_mul_f16_e32 v92, 0x39e9, v53
	v_add_f16_e32 v56, v73, v56
	v_mul_f16_e32 v73, 0xb836, v45
	v_mul_f16_e32 v94, 0x3b76, v54
	v_add_f16_e32 v55, v59, v55
	v_add_f16_e32 v59, v65, v92
	v_bfi_b32 v65, s27, v74, v83
	v_fma_f16 v74, v58, s18, v73
	v_mul_f16_e32 v98, 0x2de8, v58
	v_fma_f16 v100, v38, s22, -v100
	v_add_f16_e32 v55, v59, v55
	v_add_f16_e32 v59, v68, v94
	v_add_f16_e32 v56, v74, v56
	v_mul_f16_e32 v74, 0xb1e1, v48
	v_pk_add_f16 v9, v37, v9
	v_add_f16_e32 v96, v100, v96
	v_mul_f16_e32 v100, 0xbacd, v67
	v_add_f16_e32 v55, v59, v55
	v_add_f16_e32 v59, v70, v98
	v_bfi_b32 v68, s27, v75, v84
	v_fma_f16 v75, v67, s16, v74
	v_pk_add_f16 v9, v9, v10
	v_fma_f16 v10, v41, s22, -v52
	v_add_f16_e32 v55, v59, v55
	v_add_f16_e32 v59, v80, v100
	;; [unrolled: 1-line block ×3, first 2 shown]
	v_mul_f16_sdwa v75, v30, s28 dst_sel:DWORD dst_unused:UNUSED_PAD src0_sel:WORD_1 src1_sel:DWORD
	v_pk_add_f16 v9, v9, v13
	v_add_f16_sdwa v10, v37, v10 dst_sel:DWORD dst_unused:UNUSED_PAD src0_sel:WORD_1 src1_sel:DWORD
	v_fma_f16 v13, v44, s6, -v57
	v_add_f16_e32 v55, v59, v55
	v_bfi_b32 v59, s27, v71, v79
	v_bfi_b32 v70, s27, v76, v85
	;; [unrolled: 1-line block ×3, first 2 shown]
	v_fma_f16 v76, v32, s22, -v75
	v_mul_f16_sdwa v77, v31, s19 dst_sel:DWORD dst_unused:UNUSED_PAD src0_sel:WORD_1 src1_sel:DWORD
	v_add_f16_e32 v10, v13, v10
	v_fma_f16 v13, v47, s7, -v61
	v_bfi_b32 v60, s27, v72, v81
	v_bfi_b32 v72, s27, v78, v87
	v_add_f16_e32 v76, v37, v76
	v_fma_f16 v78, v33, s6, -v77
	v_add_f16_e32 v10, v13, v10
	v_fma_f16 v13, v49, s10, -v63
	v_add_f16_e32 v76, v78, v76
	v_mul_f16_sdwa v78, v34, s26 dst_sel:DWORD dst_unused:UNUSED_PAD src0_sel:WORD_1 src1_sel:DWORD
	v_add_f16_e32 v10, v13, v10
	v_fma_f16 v13, v53, s17, -v66
	v_fma_f16 v79, v36, s7, -v78
	v_pk_add_f16 v9, v9, v14
	v_add_f16_e32 v10, v13, v10
	v_fma_f16 v13, v54, s14, -v69
	v_add_f16_e32 v76, v79, v76
	v_mul_f16_sdwa v79, v35, s21 dst_sel:DWORD dst_unused:UNUSED_PAD src0_sel:WORD_1 src1_sel:DWORD
	v_pk_add_f16 v9, v9, v17
	v_add_f16_e32 v10, v13, v10
	v_fma_f16 v13, v58, s18, -v73
	v_fma_f16 v80, v38, s10, -v79
	v_add_f16_e32 v10, v13, v10
	v_fma_f16 v13, v67, s16, -v74
	v_pk_add_f16 v9, v9, v18
	v_add_f16_e32 v76, v80, v76
	v_mul_f16_sdwa v80, v39, s3 dst_sel:DWORD dst_unused:UNUSED_PAD src0_sel:WORD_1 src1_sel:DWORD
	v_add_f16_e32 v10, v13, v10
	v_fma_f16 v13, v32, s22, v75
	v_pk_add_f16 v9, v9, v21
	v_fma_f16 v81, v42, s17, -v80
	v_add_f16_e32 v13, v37, v13
	v_fma_f16 v14, v33, s6, v77
	v_pk_add_f16 v9, v9, v22
	v_add_f16_e32 v76, v81, v76
	v_mul_f16_sdwa v81, v40, s11 dst_sel:DWORD dst_unused:UNUSED_PAD src0_sel:WORD_1 src1_sel:DWORD
	v_add_f16_e32 v13, v14, v13
	v_fma_f16 v14, v36, s7, v78
	v_pk_add_f16 v9, v9, v19
	v_fma_f16 v141, v30, s25, v141
	v_fma_f16 v123, v30, s11, v123
	v_fma_f16 v82, v43, s14, -v81
	v_add_f16_e32 v13, v14, v13
	v_fma_f16 v14, v38, s10, v79
	v_pk_add_f16 v9, v9, v20
	v_add_f16_e32 v142, v150, v142
	v_mul_f16_sdwa v150, v30, s25 dst_sel:DWORD dst_unused:UNUSED_PAD src0_sel:WORD_1 src1_sel:DWORD
	v_add_f16_sdwa v141, v37, v141 dst_sel:DWORD dst_unused:UNUSED_PAD src0_sel:WORD_1 src1_sel:DWORD
	v_fma_f16 v143, v31, s20, v143
	v_add_f16_sdwa v123, v37, v123 dst_sel:DWORD dst_unused:UNUSED_PAD src0_sel:WORD_1 src1_sel:DWORD
	v_add_f16_e32 v76, v82, v76
	v_mul_f16_sdwa v82, v45, s25 dst_sel:DWORD dst_unused:UNUSED_PAD src0_sel:WORD_1 src1_sel:DWORD
	v_add_f16_e32 v13, v14, v13
	v_fma_f16 v14, v42, s17, v80
	v_pk_add_f16 v9, v9, v15
	v_fma_f16 v151, v32, s18, v150
	v_mul_f16_sdwa v152, v31, s20 dst_sel:DWORD dst_unused:UNUSED_PAD src0_sel:WORD_1 src1_sel:DWORD
	v_add_f16_e32 v141, v143, v141
	v_fma_f16 v143, v34, s21, v144
	v_add_f16_e32 v123, v125, v123
	v_fma_f16 v125, v34, s28, v126
	v_fma_f16 v83, v46, s18, -v82
	v_add_f16_e32 v13, v14, v13
	v_fma_f16 v14, v43, s14, v81
	v_pk_add_f16 v9, v9, v16
	v_add_f16_e32 v151, v37, v151
	v_fma_f16 v153, v33, s7, v152
	v_add_f16_e32 v141, v143, v141
	v_fma_f16 v143, v35, s30, v145
	;; [unrolled: 2-line block ×3, first 2 shown]
	v_add_f16_e32 v76, v83, v76
	v_mul_f16_sdwa v83, v48, s15 dst_sel:DWORD dst_unused:UNUSED_PAD src0_sel:WORD_1 src1_sel:DWORD
	v_add_f16_e32 v13, v14, v13
	v_fma_f16 v14, v46, s18, v82
	v_pk_add_f16 v9, v9, v11
	v_add_f16_e32 v151, v153, v151
	v_mul_f16_sdwa v153, v34, s21 dst_sel:DWORD dst_unused:UNUSED_PAD src0_sel:WORD_1 src1_sel:DWORD
	v_add_f16_e32 v141, v143, v141
	v_fma_f16 v143, v39, s28, v146
	v_add_f16_e32 v123, v125, v123
	v_fma_f16 v125, v39, s2, v128
	v_fma_f16 v84, v51, s16, -v83
	v_add_f16_e32 v13, v14, v13
	v_fma_f16 v14, v51, s16, v83
	v_pk_add_f16 v9, v9, v12
	v_fma_f16 v154, v36, s10, v153
	v_add_f16_e32 v141, v143, v141
	v_fma_f16 v143, v40, s15, v147
	v_add_f16_e32 v123, v125, v123
	;; [unrolled: 2-line block ×3, first 2 shown]
	v_add_f16_e32 v13, v14, v13
	v_mul_u32_u24_e32 v14, 0x44, v0
	v_pk_add_f16 v7, v9, v7
	v_add_f16_e32 v151, v154, v151
	v_mul_f16_sdwa v154, v35, s30 dst_sel:DWORD dst_unused:UNUSED_PAD src0_sel:WORD_1 src1_sel:DWORD
	v_add_f16_e32 v141, v143, v141
	v_fma_f16 v143, v45, s24, v148
	v_add_f16_e32 v123, v125, v123
	v_fma_f16 v125, v45, s15, v130
	v_alignbit_b32 v108, v37, v37, 16
	v_add3_u32 v14, 0, v14, v24
	v_pk_add_f16 v7, v7, v8
	v_pack_b32_f16 v8, v76, v56
	v_fma_f16 v155, v38, s14, v154
	v_add_f16_e32 v141, v143, v141
	v_fma_f16 v143, v48, s3, v149
	v_add_f16_e32 v123, v125, v123
	v_fma_f16 v125, v48, s20, v131
	ds_write2_b32 v14, v7, v8 offset1:1
	v_pk_add_f16 v7, v108, v59
	v_add_f16_e32 v151, v155, v151
	v_mul_f16_sdwa v155, v39, s28 dst_sel:DWORD dst_unused:UNUSED_PAD src0_sel:WORD_1 src1_sel:DWORD
	v_add_f16_e32 v141, v143, v141
	v_fma_f16 v143, v32, s18, -v150
	v_add_f16_e32 v123, v125, v123
	v_fma_f16 v125, v32, s14, -v132
	v_pk_add_f16 v7, v60, v7
	v_fma_f16 v156, v42, s22, v155
	v_add_f16_e32 v143, v37, v143
	v_fma_f16 v144, v33, s7, -v152
	v_add_f16_e32 v125, v37, v125
	v_fma_f16 v126, v33, s17, -v134
	v_pk_add_f16 v7, v62, v7
	v_add_f16_e32 v151, v156, v151
	v_mul_f16_sdwa v156, v40, s15 dst_sel:DWORD dst_unused:UNUSED_PAD src0_sel:WORD_1 src1_sel:DWORD
	v_add_f16_e32 v143, v144, v143
	v_fma_f16 v144, v36, s10, -v153
	v_add_f16_e32 v125, v126, v125
	v_fma_f16 v126, v36, s22, -v135
	v_pk_add_f16 v7, v65, v7
	v_fma_f16 v157, v43, s16, v156
	v_add_f16_e32 v143, v144, v143
	v_fma_f16 v144, v38, s14, -v154
	v_add_f16_e32 v125, v126, v125
	v_fma_f16 v126, v38, s18, -v136
	v_fma_f16 v101, v42, s7, -v101
	v_pk_add_f16 v7, v68, v7
	v_add_f16_e32 v151, v157, v151
	v_mul_f16_sdwa v157, v45, s24 dst_sel:DWORD dst_unused:UNUSED_PAD src0_sel:WORD_1 src1_sel:DWORD
	v_add_f16_e32 v143, v144, v143
	v_fma_f16 v144, v42, s22, -v155
	v_add_f16_e32 v125, v126, v125
	v_fma_f16 v126, v42, s10, -v137
	;; [unrolled: 2-line block ×3, first 2 shown]
	v_pk_add_f16 v7, v70, v7
	v_fma_f16 v158, v46, s6, v157
	v_add_f16_e32 v143, v144, v143
	v_fma_f16 v144, v43, s16, -v156
	v_add_f16_e32 v125, v126, v125
	v_fma_f16 v126, v43, s6, -v138
	;; [unrolled: 2-line block ×3, first 2 shown]
	v_pk_add_f16 v7, v71, v7
	v_add_f16_e32 v151, v158, v151
	v_mul_f16_sdwa v158, v48, s3 dst_sel:DWORD dst_unused:UNUSED_PAD src0_sel:WORD_1 src1_sel:DWORD
	v_add_f16_e32 v143, v144, v143
	v_fma_f16 v144, v46, s6, -v157
	v_add_f16_e32 v125, v126, v125
	v_fma_f16 v126, v46, s16, -v139
	;; [unrolled: 2-line block ×3, first 2 shown]
	v_pk_add_f16 v7, v72, v7
	v_add_f16_e32 v143, v144, v143
	v_fma_f16 v144, v51, s17, -v158
	v_add_f16_e32 v125, v126, v125
	v_fma_f16 v126, v51, s7, -v140
	v_add_f16_e32 v96, v101, v96
	v_alignbit_b32 v8, v55, v7, 16
	v_pack_b32_f16 v7, v50, v7
	v_add_f16_e32 v143, v144, v143
	v_add_f16_e32 v125, v126, v125
	ds_write2_b32 v14, v7, v8 offset0:2 offset1:3
	v_pack_b32_f16 v7, v107, v105
	v_pack_b32_f16 v8, v96, v88
	ds_write2_b32 v14, v8, v7 offset0:4 offset1:5
	v_pack_b32_f16 v7, v143, v141
	v_pack_b32_f16 v8, v125, v123
	ds_write2_b32 v14, v8, v7 offset0:6 offset1:7
	v_pk_mul_f16 v7, v32, s16 op_sel_hi:[1,0]
	v_pk_fma_f16 v8, v30, s15, v7 op_sel:[0,0,1] op_sel_hi:[1,0,0] neg_lo:[1,0,0] neg_hi:[1,0,0]
	v_pk_mul_f16 v9, v33, s22 op_sel_hi:[1,0]
	v_pk_add_f16 v8, v108, v8
	v_pk_fma_f16 v11, v31, s23, v9 op_sel:[0,0,1] op_sel_hi:[1,0,0] neg_lo:[1,0,0] neg_hi:[1,0,0]
	v_pk_add_f16 v8, v11, v8
	v_pk_mul_f16 v11, v36, s18 op_sel_hi:[1,0]
	v_pk_fma_f16 v12, v34, s25, v11 op_sel:[0,0,1] op_sel_hi:[1,0,0] neg_lo:[1,0,0] neg_hi:[1,0,0]
	v_pk_add_f16 v8, v12, v8
	v_pk_mul_f16 v12, v38, s6 op_sel_hi:[1,0]
	;; [unrolled: 3-line block ×3, first 2 shown]
	v_pk_fma_f16 v7, v30, s15, v7 op_sel:[0,0,1] op_sel_hi:[1,0,0]
	v_pk_fma_f16 v16, v39, s11, v15 op_sel:[0,0,1] op_sel_hi:[1,0,0] neg_lo:[1,0,0] neg_hi:[1,0,0]
	v_pk_add_f16 v7, v108, v7
	v_pk_fma_f16 v9, v31, s23, v9 op_sel:[0,0,1] op_sel_hi:[1,0,0]
	v_pk_add_f16 v8, v16, v8
	v_pk_mul_f16 v16, v43, s7 op_sel_hi:[1,0]
	v_pk_add_f16 v7, v9, v7
	v_pk_fma_f16 v9, v34, s25, v11 op_sel:[0,0,1] op_sel_hi:[1,0,0]
	v_pk_fma_f16 v17, v40, s20, v16 op_sel:[0,0,1] op_sel_hi:[1,0,0] neg_lo:[1,0,0] neg_hi:[1,0,0]
	v_pk_add_f16 v7, v9, v7
	v_pk_fma_f16 v9, v35, s24, v12 op_sel:[0,0,1] op_sel_hi:[1,0,0]
	v_pk_add_f16 v8, v17, v8
	v_pk_mul_f16 v17, v46, s17 op_sel_hi:[1,0]
	v_pk_add_f16 v7, v9, v7
	;; [unrolled: 7-line block ×3, first 2 shown]
	v_pk_fma_f16 v9, v45, s3, v17 op_sel:[0,0,1] op_sel_hi:[1,0,0]
	v_pk_fma_f16 v19, v48, s2, v18 op_sel:[0,0,1] op_sel_hi:[1,0,0] neg_lo:[1,0,0] neg_hi:[1,0,0]
	v_pk_add_f16 v7, v9, v7
	v_pk_fma_f16 v9, v48, s2, v18 op_sel:[0,0,1] op_sel_hi:[1,0,0]
	v_fma_f16 v159, v51, s17, v158
	v_pk_add_f16 v8, v19, v8
	v_pk_add_f16 v7, v9, v7
	v_add_f16_e32 v151, v159, v151
	v_alignbit_b32 v9, v8, v7, 16
	v_alignbit_b32 v7, v7, v8, 16
	ds_write2_b32 v14, v7, v9 offset0:8 offset1:9
	v_pack_b32_f16 v7, v133, v124
	v_pack_b32_f16 v8, v151, v142
	ds_write2_b32 v14, v8, v7 offset0:10 offset1:11
	v_pack_b32_f16 v7, v97, v64
	v_pack_b32_f16 v8, v115, v106
	s_mov_b32 s2, 0x5040100
	ds_write2_b32 v14, v8, v7 offset0:12 offset1:13
	v_perm_b32 v7, v28, v6, s2
	v_perm_b32 v8, v27, v5, s2
	ds_write2_b32 v14, v8, v7 offset0:14 offset1:15
	v_pack_b32_f16 v7, v13, v10
	ds_write_b32 v14, v7 offset:64
.LBB0_20:
	s_or_b64 exec, exec, s[4:5]
	v_add_u32_e32 v7, 0x200, v1
	s_waitcnt lgkmcnt(0)
	s_barrier
	ds_read2_b32 v[9:10], v7 offset0:127 offset1:161
	ds_read2_b32 v[11:12], v1 offset0:34 offset1:68
	;; [unrolled: 1-line block ×6, first 2 shown]
	ds_read_b32 v34, v25
	ds_read_b32 v36, v1 offset:1836
	s_and_saveexec_b64 s[2:3], s[0:1]
	s_cbranch_execz .LBB0_22
; %bb.21:
	v_add_u32_e32 v5, 0x3b8, v1
	ds_read2_b32 v[5:6], v5 offset1:255
	s_waitcnt lgkmcnt(0)
	v_lshrrev_b32_e32 v27, 16, v5
	v_lshrrev_b32_e32 v28, 16, v6
.LBB0_22:
	s_or_b64 exec, exec, s[2:3]
	s_movk_i32 s2, 0xf1
	v_add_u16_e32 v8, 0xaa, v0
	v_mul_lo_u16_sdwa v21, v8, s2 dst_sel:DWORD dst_unused:UNUSED_PAD src0_sel:BYTE_0 src1_sel:DWORD
	v_lshrrev_b16_e32 v40, 12, v21
	v_mul_lo_u16_e32 v21, 17, v40
	v_sub_u16_e32 v8, v8, v21
	v_add_u16_e32 v21, 0xcc, v0
	v_mul_lo_u16_sdwa v22, v21, s2 dst_sel:DWORD dst_unused:UNUSED_PAD src0_sel:BYTE_0 src1_sel:DWORD
	v_add_u16_e32 v32, 0x66, v0
	v_add_u16_e32 v30, 0x88, v0
	v_lshrrev_b16_e32 v41, 12, v22
	v_mul_lo_u16_sdwa v33, v32, s2 dst_sel:DWORD dst_unused:UNUSED_PAD src0_sel:BYTE_0 src1_sel:DWORD
	v_mul_lo_u16_sdwa v31, v30, s2 dst_sel:DWORD dst_unused:UNUSED_PAD src0_sel:BYTE_0 src1_sel:DWORD
	v_mul_lo_u16_e32 v22, 17, v41
	v_lshrrev_b16_e32 v48, 12, v33
	v_lshrrev_b16_e32 v39, 12, v31
	v_sub_u16_e32 v21, v21, v22
	v_mov_b32_e32 v29, 2
	v_mul_lo_u16_e32 v35, 17, v48
	v_mul_lo_u16_e32 v7, 17, v39
	v_lshlrev_b32_sdwa v44, v29, v21 dst_sel:DWORD dst_unused:UNUSED_PAD src0_sel:DWORD src1_sel:BYTE_0
	v_add_u32_e32 v21, 0x44, v0
	v_sub_u16_e32 v35, v32, v35
	v_sub_u16_e32 v7, v30, v7
	v_add_u32_e32 v22, 34, v0
	v_lshlrev_b32_sdwa v49, v29, v35 dst_sel:DWORD dst_unused:UNUSED_PAD src0_sel:DWORD src1_sel:BYTE_0
	v_mul_lo_u16_sdwa v35, v21, s2 dst_sel:DWORD dst_unused:UNUSED_PAD src0_sel:BYTE_0 src1_sel:DWORD
	v_lshlrev_b32_sdwa v42, v29, v7 dst_sel:DWORD dst_unused:UNUSED_PAD src0_sel:DWORD src1_sel:BYTE_0
	v_subrev_u32_e32 v7, 17, v0
	v_lshrrev_b16_e32 v51, 12, v35
	v_mul_lo_u16_sdwa v54, v22, s2 dst_sel:DWORD dst_unused:UNUSED_PAD src0_sel:BYTE_0 src1_sel:DWORD
	v_lshlrev_b32_sdwa v43, v29, v8 dst_sel:DWORD dst_unused:UNUSED_PAD src0_sel:DWORD src1_sel:BYTE_0
	v_cndmask_b32_e64 v7, v7, v0, s[0:1]
	v_mov_b32_e32 v8, 0
	v_mul_lo_u16_e32 v52, 17, v51
	v_lshrrev_b16_e32 v54, 12, v54
	global_load_dword v45, v44, s[8:9]
	global_load_dword v46, v43, s[8:9]
	;; [unrolled: 1-line block ×3, first 2 shown]
	v_lshlrev_b64 v[37:38], 2, v[7:8]
	v_sub_u16_e32 v52, v21, v52
	v_mul_lo_u16_e32 v55, 17, v54
	global_load_dword v50, v49, s[8:9]
	v_lshlrev_b32_sdwa v52, v29, v52 dst_sel:DWORD dst_unused:UNUSED_PAD src0_sel:DWORD src1_sel:BYTE_0
	global_load_dword v53, v52, s[8:9]
	v_sub_u16_e32 v55, v22, v55
	v_lshlrev_b32_sdwa v55, v29, v55 dst_sel:DWORD dst_unused:UNUSED_PAD src0_sel:DWORD src1_sel:BYTE_0
	global_load_dword v56, v55, s[8:9]
	v_mov_b32_e32 v57, s9
	v_add_co_u32_e64 v37, s[2:3], s8, v37
	v_addc_co_u32_e64 v38, s[2:3], v57, v38, s[2:3]
	global_load_dword v37, v[37:38], off
	s_movk_i32 s4, 0x88
	v_mad_u32_u24 v39, v39, s4, 0
	v_mad_u32_u24 v40, v40, s4, 0
	;; [unrolled: 1-line block ×4, first 2 shown]
	v_add3_u32 v39, v39, v42, v24
	v_add3_u32 v40, v40, v43, v24
	s_mov_b32 s5, 0xffff
	v_add3_u32 v48, v48, v49, v24
	v_add3_u32 v41, v41, v44, v24
	v_mov_b32_e32 v38, 0x88
	v_cmp_lt_u32_e64 s[2:3], 16, v0
	v_cndmask_b32_e64 v38, 0, v38, s[2:3]
	v_add_u32_e32 v38, 0, v38
	v_lshlrev_b32_e32 v7, 2, v7
	v_add3_u32 v7, v38, v7, v24
	v_mad_u32_u24 v38, v54, s4, 0
	v_mad_u32_u24 v51, v51, s4, 0
	v_add3_u32 v38, v38, v55, v24
	v_add3_u32 v51, v51, v52, v24
	s_waitcnt vmcnt(0) lgkmcnt(0)
	s_barrier
	v_pk_mul_f16 v42, v45, v36 op_sel:[0,1]
	v_pk_mul_f16 v43, v46, v20 op_sel:[0,1]
	;; [unrolled: 1-line block ×3, first 2 shown]
	v_pk_fma_f16 v49, v45, v36, v42 op_sel:[0,0,1] op_sel_hi:[1,1,0] neg_lo:[0,0,1] neg_hi:[0,0,1]
	v_pk_fma_f16 v36, v45, v36, v42 op_sel:[0,0,1] op_sel_hi:[1,0,0]
	v_pk_fma_f16 v42, v46, v20, v43 op_sel:[0,0,1] op_sel_hi:[1,1,0] neg_lo:[0,0,1] neg_hi:[0,0,1]
	v_pk_fma_f16 v20, v46, v20, v43 op_sel:[0,0,1] op_sel_hi:[1,0,0]
	;; [unrolled: 2-line block ×3, first 2 shown]
	v_bfi_b32 v20, s5, v42, v20
	v_pk_mul_f16 v42, v50, v14 op_sel:[0,1]
	v_bfi_b32 v19, s5, v43, v19
	v_pk_fma_f16 v43, v50, v14, v42 op_sel:[0,0,1] op_sel_hi:[1,1,0] neg_lo:[0,0,1] neg_hi:[0,0,1]
	v_pk_fma_f16 v14, v50, v14, v42 op_sel:[0,0,1] op_sel_hi:[1,0,0]
	v_pk_mul_f16 v42, v53, v13 op_sel:[0,1]
	v_bfi_b32 v14, s5, v43, v14
	v_pk_fma_f16 v43, v53, v13, v42 op_sel:[0,0,1] op_sel_hi:[1,1,0] neg_lo:[0,0,1] neg_hi:[0,0,1]
	v_pk_fma_f16 v13, v53, v13, v42 op_sel:[0,0,1] op_sel_hi:[1,0,0]
	;; [unrolled: 4-line block ×4, first 2 shown]
	v_bfi_b32 v9, s5, v43, v9
	v_bfi_b32 v36, s5, v49, v36
	v_pk_add_f16 v9, v34, v9 neg_lo:[0,1] neg_hi:[0,1]
	v_pk_add_f16 v36, v18, v36 neg_lo:[0,1] neg_hi:[0,1]
	;; [unrolled: 1-line block ×7, first 2 shown]
	v_pk_fma_f16 v34, v34, 2.0, v9 op_sel_hi:[1,0,1] neg_lo:[0,0,1] neg_hi:[0,0,1]
	v_pk_fma_f16 v18, v18, 2.0, v36 op_sel_hi:[1,0,1] neg_lo:[0,0,1] neg_hi:[0,0,1]
	;; [unrolled: 1-line block ×7, first 2 shown]
	ds_write2_b32 v7, v34, v9 offset1:17
	ds_write2_b32 v38, v11, v10 offset1:17
	;; [unrolled: 1-line block ×7, first 2 shown]
	s_and_saveexec_b64 s[2:3], s[0:1]
	s_cbranch_execz .LBB0_24
; %bb.23:
	v_add_u32_e32 v7, 0xee, v0
	s_mov_b32 s0, 0xf0f1
	v_mul_u32_u24_sdwa v9, v7, s0 dst_sel:DWORD dst_unused:UNUSED_PAD src0_sel:WORD_0 src1_sel:DWORD
	v_lshrrev_b32_e32 v9, 20, v9
	v_mul_lo_u16_e32 v9, 17, v9
	v_sub_u16_e32 v7, v7, v9
	v_lshlrev_b32_e32 v7, 2, v7
	global_load_dword v9, v7, s[8:9]
	v_add3_u32 v7, 0, v7, v24
	v_add_u32_e32 v7, 0x400, v7
	s_waitcnt vmcnt(0)
	v_mul_f16_sdwa v10, v28, v9 dst_sel:DWORD dst_unused:UNUSED_PAD src0_sel:DWORD src1_sel:WORD_1
	v_mul_f16_sdwa v11, v6, v9 dst_sel:DWORD dst_unused:UNUSED_PAD src0_sel:DWORD src1_sel:WORD_1
	v_fma_f16 v6, v6, v9, -v10
	v_fma_f16 v9, v28, v9, v11
	v_sub_f16_e32 v6, v5, v6
	v_sub_f16_e32 v9, v27, v9
	v_fma_f16 v5, v5, 2.0, -v6
	v_fma_f16 v10, v27, 2.0, -v9
	v_pack_b32_f16 v6, v6, v9
	v_pack_b32_f16 v5, v5, v10
	ds_write2_b32 v7, v5, v6 offset0:220 offset1:237
.LBB0_24:
	s_or_b64 exec, exec, s[2:3]
	v_lshlrev_b32_e32 v7, 1, v0
	v_lshlrev_b64 v[5:6], 2, v[7:8]
	v_mov_b32_e32 v38, s9
	v_add_co_u32_e64 v5, s[0:1], s8, v5
	v_addc_co_u32_e64 v6, s[0:1], v38, v6, s[0:1]
	s_waitcnt lgkmcnt(0)
	s_barrier
	global_load_dwordx2 v[9:10], v[5:6], off offset:68
	v_lshrrev_b16_e32 v5, 13, v35
	v_mul_lo_u16_e32 v5, 34, v5
	v_sub_u16_e32 v5, v21, v5
	v_mov_b32_e32 v6, 3
	v_lshrrev_b16_e32 v11, 13, v33
	v_lshrrev_b16_e32 v15, 13, v31
	v_lshlrev_b32_sdwa v7, v6, v5 dst_sel:DWORD dst_unused:UNUSED_PAD src0_sel:DWORD src1_sel:BYTE_0
	v_mul_lo_u16_e32 v13, 34, v11
	v_mul_lo_u16_e32 v15, 34, v15
	global_load_dwordx2 v[11:12], v7, s[8:9] offset:68
	v_sub_u16_e32 v7, v32, v13
	v_sub_u16_e32 v39, v30, v15
	v_lshlrev_b32_sdwa v13, v6, v7 dst_sel:DWORD dst_unused:UNUSED_PAD src0_sel:DWORD src1_sel:BYTE_0
	v_lshlrev_b32_sdwa v6, v6, v39 dst_sel:DWORD dst_unused:UNUSED_PAD src0_sel:DWORD src1_sel:BYTE_0
	global_load_dwordx2 v[13:14], v13, s[8:9] offset:68
	v_add_u32_e32 v41, 0x400, v1
	global_load_dwordx2 v[15:16], v6, s[8:9] offset:68
	ds_read_b32 v40, v25
	ds_read2_b32 v[17:18], v1 offset0:170 offset1:204
	ds_read2_b32 v[19:20], v1 offset0:34 offset1:68
	v_add_u32_e32 v6, 0x200, v1
	ds_read2_b32 v[27:28], v1 offset0:102 offset1:136
	ds_read2_b32 v[30:31], v41 offset0:50 offset1:84
	;; [unrolled: 1-line block ×5, first 2 shown]
	s_waitcnt lgkmcnt(7)
	v_lshrrev_b32_e32 v42, 16, v40
	s_waitcnt lgkmcnt(6)
	v_lshrrev_b32_e32 v47, 16, v17
	v_lshrrev_b32_e32 v48, 16, v18
	s_waitcnt lgkmcnt(3)
	v_lshrrev_b32_e32 v53, 16, v30
	v_lshrrev_b32_e32 v55, 16, v31
	s_waitcnt lgkmcnt(1)
	v_lshrrev_b32_e32 v49, 16, v34
	s_waitcnt lgkmcnt(0)
	v_lshrrev_b32_e32 v54, 16, v37
	v_lshrrev_b32_e32 v50, 16, v33
	;; [unrolled: 1-line block ×3, first 2 shown]
	s_movk_i32 s0, 0x3aee
	s_mov_b32 s1, 0xbaee
	v_lshrrev_b32_e32 v51, 16, v35
	v_lshrrev_b32_e32 v43, 16, v19
	;; [unrolled: 1-line block ×6, first 2 shown]
	s_waitcnt vmcnt(0)
	s_barrier
	v_lshlrev_b32_sdwa v5, v29, v5 dst_sel:DWORD dst_unused:UNUSED_PAD src0_sel:DWORD src1_sel:BYTE_0
	v_add3_u32 v5, 0, v5, v24
	s_mov_b32 s3, 0xbb9c
	s_mov_b32 s4, 0xb8b4
	s_movk_i32 s2, 0x34f2
	v_mul_f16_sdwa v57, v9, v47 dst_sel:DWORD dst_unused:UNUSED_PAD src0_sel:WORD_1 src1_sel:DWORD
	v_mul_f16_sdwa v58, v9, v17 dst_sel:DWORD dst_unused:UNUSED_PAD src0_sel:WORD_1 src1_sel:DWORD
	;; [unrolled: 1-line block ×5, first 2 shown]
	v_fma_f16 v17, v9, v17, -v57
	v_fma_f16 v47, v9, v47, v58
	v_fma_f16 v18, v9, v18, -v61
	v_fma_f16 v9, v9, v48, v62
	v_mul_f16_sdwa v60, v10, v31 dst_sel:DWORD dst_unused:UNUSED_PAD src0_sel:WORD_1 src1_sel:DWORD
	v_mul_f16_sdwa v65, v49, v11 dst_sel:DWORD dst_unused:UNUSED_PAD src0_sel:DWORD src1_sel:WORD_1
	v_mul_f16_sdwa v66, v34, v11 dst_sel:DWORD dst_unused:UNUSED_PAD src0_sel:DWORD src1_sel:WORD_1
	v_fma_f16 v31, v10, v31, -v59
	v_fma_f16 v55, v10, v55, v60
	v_fma_f16 v34, v34, v11, -v65
	v_fma_f16 v11, v49, v11, v66
	v_add_f16_e32 v49, v17, v31
	v_mul_f16_sdwa v73, v53, v15 dst_sel:DWORD dst_unused:UNUSED_PAD src0_sel:DWORD src1_sel:WORD_1
	v_fma_f16 v48, v30, v15, -v73
	v_mul_f16_sdwa v30, v30, v15 dst_sel:DWORD dst_unused:UNUSED_PAD src0_sel:DWORD src1_sel:WORD_1
	v_fma_f16 v15, v53, v15, v30
	v_mul_f16_sdwa v30, v54, v16 dst_sel:DWORD dst_unused:UNUSED_PAD src0_sel:DWORD src1_sel:WORD_1
	v_fma_f16 v30, v37, v16, -v30
	v_mul_f16_sdwa v37, v37, v16 dst_sel:DWORD dst_unused:UNUSED_PAD src0_sel:DWORD src1_sel:WORD_1
	v_mul_f16_sdwa v63, v10, v56 dst_sel:DWORD dst_unused:UNUSED_PAD src0_sel:WORD_1 src1_sel:DWORD
	v_mul_f16_sdwa v67, v50, v12 dst_sel:DWORD dst_unused:UNUSED_PAD src0_sel:DWORD src1_sel:WORD_1
	v_mul_f16_sdwa v68, v33, v12 dst_sel:DWORD dst_unused:UNUSED_PAD src0_sel:DWORD src1_sel:WORD_1
	v_fma_f16 v16, v54, v16, v37
	v_add_f16_e32 v37, v40, v17
	v_fma_f16 v40, v49, -0.5, v40
	v_sub_f16_e32 v49, v47, v55
	v_mul_f16_sdwa v64, v10, v32 dst_sel:DWORD dst_unused:UNUSED_PAD src0_sel:WORD_1 src1_sel:DWORD
	v_fma_f16 v32, v10, v32, -v63
	v_fma_f16 v33, v33, v12, -v67
	v_fma_f16 v12, v50, v12, v68
	v_fma_f16 v50, v49, s0, v40
	;; [unrolled: 1-line block ×3, first 2 shown]
	v_add_f16_e32 v49, v42, v47
	v_add_f16_e32 v47, v47, v55
	v_fma_f16 v10, v10, v56, v64
	v_fma_f16 v42, v47, -0.5, v42
	v_sub_f16_e32 v17, v17, v31
	v_add_f16_e32 v47, v18, v32
	v_mul_f16_sdwa v69, v51, v13 dst_sel:DWORD dst_unused:UNUSED_PAD src0_sel:DWORD src1_sel:WORD_1
	v_mul_f16_sdwa v70, v35, v13 dst_sel:DWORD dst_unused:UNUSED_PAD src0_sel:DWORD src1_sel:WORD_1
	v_add_f16_e32 v37, v37, v31
	v_fma_f16 v31, v17, s1, v42
	v_fma_f16 v17, v17, s0, v42
	v_add_f16_e32 v42, v19, v18
	v_fma_f16 v19, v47, -0.5, v19
	v_sub_f16_e32 v47, v9, v10
	v_fma_f16 v35, v35, v13, -v69
	v_fma_f16 v13, v51, v13, v70
	v_fma_f16 v51, v47, s0, v19
	;; [unrolled: 1-line block ×3, first 2 shown]
	v_add_f16_e32 v47, v43, v9
	v_add_f16_e32 v9, v9, v10
	;; [unrolled: 1-line block ×4, first 2 shown]
	v_fma_f16 v9, v9, -0.5, v43
	v_sub_f16_e32 v10, v18, v32
	v_add_f16_e32 v32, v34, v33
	v_mul_f16_sdwa v71, v52, v14 dst_sel:DWORD dst_unused:UNUSED_PAD src0_sel:DWORD src1_sel:WORD_1
	v_fma_f16 v18, v10, s1, v9
	v_fma_f16 v9, v10, s0, v9
	v_add_f16_e32 v10, v20, v34
	v_fma_f16 v20, v32, -0.5, v20
	v_sub_f16_e32 v32, v11, v12
	v_mul_f16_sdwa v72, v36, v14 dst_sel:DWORD dst_unused:UNUSED_PAD src0_sel:DWORD src1_sel:WORD_1
	v_fma_f16 v36, v36, v14, -v71
	v_fma_f16 v43, v32, s0, v20
	v_fma_f16 v20, v32, s1, v20
	v_add_f16_e32 v32, v44, v11
	v_add_f16_e32 v11, v11, v12
	v_fma_f16 v14, v52, v14, v72
	v_add_f16_e32 v32, v32, v12
	v_fma_f16 v11, v11, -0.5, v44
	v_sub_f16_e32 v12, v34, v33
	v_add_f16_e32 v34, v35, v36
	v_add_f16_e32 v10, v10, v33
	v_fma_f16 v33, v12, s1, v11
	v_fma_f16 v11, v12, s0, v11
	v_add_f16_e32 v12, v27, v35
	v_fma_f16 v27, v34, -0.5, v27
	v_sub_f16_e32 v34, v13, v14
	v_fma_f16 v44, v34, s0, v27
	v_fma_f16 v27, v34, s1, v27
	v_add_f16_e32 v34, v45, v13
	v_add_f16_e32 v13, v13, v14
	;; [unrolled: 1-line block ×4, first 2 shown]
	v_fma_f16 v13, v13, -0.5, v45
	v_sub_f16_e32 v14, v35, v36
	v_add_f16_e32 v36, v48, v30
	v_fma_f16 v35, v14, s1, v13
	v_fma_f16 v13, v14, s0, v13
	v_add_f16_e32 v14, v28, v48
	v_fma_f16 v28, v36, -0.5, v28
	v_sub_f16_e32 v36, v15, v16
	v_fma_f16 v45, v36, s0, v28
	v_fma_f16 v28, v36, s1, v28
	v_add_f16_e32 v36, v46, v15
	v_add_f16_e32 v15, v15, v16
	;; [unrolled: 1-line block ×4, first 2 shown]
	v_fma_f16 v15, v15, -0.5, v46
	v_sub_f16_e32 v16, v48, v30
	v_add_f16_e32 v14, v14, v30
	v_fma_f16 v30, v16, s1, v15
	v_fma_f16 v15, v16, s0, v15
	v_pack_b32_f16 v16, v37, v49
	v_pack_b32_f16 v31, v50, v31
	ds_write2_b32 v1, v16, v31 offset1:34
	v_pack_b32_f16 v16, v40, v17
	v_pack_b32_f16 v17, v42, v47
	ds_write2_b32 v1, v16, v17 offset0:68 offset1:102
	v_pack_b32_f16 v16, v51, v18
	v_pack_b32_f16 v9, v19, v9
	ds_write2_b32 v1, v16, v9 offset0:136 offset1:170
	;; [unrolled: 3-line block ×3, first 2 shown]
	v_pack_b32_f16 v9, v20, v11
	ds_write_b32 v5, v9 offset:1088
	v_lshlrev_b32_sdwa v5, v29, v7 dst_sel:DWORD dst_unused:UNUSED_PAD src0_sel:DWORD src1_sel:BYTE_0
	v_add3_u32 v5, 0, v5, v24
	v_pack_b32_f16 v7, v12, v34
	v_pack_b32_f16 v9, v44, v35
	v_add_u32_e32 v10, 0x400, v5
	ds_write2_b32 v10, v7, v9 offset0:50 offset1:84
	v_pack_b32_f16 v7, v27, v13
	ds_write_b32 v5, v7 offset:1496
	v_lshlrev_b32_sdwa v5, v29, v39 dst_sel:DWORD dst_unused:UNUSED_PAD src0_sel:DWORD src1_sel:BYTE_0
	v_add3_u32 v5, 0, v5, v24
	v_pack_b32_f16 v7, v14, v36
	v_pack_b32_f16 v9, v45, v30
	v_add_u32_e32 v10, 0x400, v5
	ds_write2_b32 v10, v7, v9 offset0:152 offset1:186
	v_pack_b32_f16 v7, v28, v15
	ds_write_b32 v5, v7 offset:1904
	v_mov_b32_e32 v5, v8
	v_lshlrev_b64 v[4:5], 2, v[4:5]
	s_waitcnt lgkmcnt(0)
	v_add_co_u32_e64 v4, s[0:1], s8, v4
	v_addc_co_u32_e64 v5, s[0:1], v38, v5, s[0:1]
	s_barrier
	global_load_dwordx4 v[9:12], v[4:5], off offset:340
	v_lshlrev_b32_e32 v7, 2, v22
	v_lshlrev_b64 v[4:5], 2, v[7:8]
	v_lshlrev_b32_e32 v7, 2, v21
	v_add_co_u32_e64 v4, s[0:1], s8, v4
	v_addc_co_u32_e64 v5, s[0:1], v38, v5, s[0:1]
	global_load_dwordx4 v[13:16], v[4:5], off offset:340
	v_lshlrev_b64 v[4:5], 2, v[7:8]
	ds_read_b32 v32, v25
	ds_read_u16 v34, v1 offset:546
	v_add_co_u32_e64 v4, s[0:1], s8, v4
	v_addc_co_u32_e64 v5, s[0:1], v38, v5, s[0:1]
	global_load_dwordx4 v[17:20], v[4:5], off offset:340
	v_add_u32_e32 v33, v26, v24
	ds_read2_b32 v[4:5], v1 offset0:102 offset1:136
	ds_read2_b32 v[7:8], v1 offset0:170 offset1:204
	;; [unrolled: 1-line block ×7, first 2 shown]
	s_waitcnt lgkmcnt(6)
	v_lshrrev_b32_e32 v45, 16, v4
	s_waitcnt lgkmcnt(3)
	v_lshrrev_b32_e32 v37, 16, v24
	;; [unrolled: 2-line block ×4, first 2 shown]
	v_lshrrev_b32_e32 v41, 16, v7
	v_lshrrev_b32_e32 v42, 16, v25
	s_waitcnt lgkmcnt(0)
	v_lshrrev_b32_e32 v43, 16, v30
	v_lshrrev_b32_e32 v44, 16, v29
	s_movk_i32 s0, 0x3b9c
	s_movk_i32 s1, 0x38b4
	v_lshrrev_b32_e32 v35, 16, v32
	v_lshrrev_b32_e32 v36, 16, v21
	;; [unrolled: 1-line block ×3, first 2 shown]
	s_waitcnt vmcnt(0)
	s_barrier
	v_mul_f16_sdwa v46, v9, v45 dst_sel:DWORD dst_unused:UNUSED_PAD src0_sel:WORD_1 src1_sel:DWORD
	v_fma_f16 v46, v9, v4, -v46
	v_mul_f16_sdwa v4, v9, v4 dst_sel:DWORD dst_unused:UNUSED_PAD src0_sel:WORD_1 src1_sel:DWORD
	v_fma_f16 v4, v9, v45, v4
	v_lshrrev_b32_e32 v9, 16, v8
	v_mul_f16_sdwa v45, v10, v9 dst_sel:DWORD dst_unused:UNUSED_PAD src0_sel:WORD_1 src1_sel:DWORD
	v_fma_f16 v45, v10, v8, -v45
	v_mul_f16_sdwa v8, v10, v8 dst_sel:DWORD dst_unused:UNUSED_PAD src0_sel:WORD_1 src1_sel:DWORD
	v_fma_f16 v8, v10, v9, v8
	v_lshrrev_b32_e32 v9, 16, v26
	;; [unrolled: 5-line block ×3, first 2 shown]
	v_mul_f16_sdwa v26, v12, v11 dst_sel:DWORD dst_unused:UNUSED_PAD src0_sel:WORD_1 src1_sel:DWORD
	v_fma_f16 v26, v12, v31, -v26
	v_mul_f16_sdwa v31, v12, v31 dst_sel:DWORD dst_unused:UNUSED_PAD src0_sel:WORD_1 src1_sel:DWORD
	v_fma_f16 v11, v12, v11, v31
	v_mul_f16_sdwa v12, v34, v13 dst_sel:DWORD dst_unused:UNUSED_PAD src0_sel:DWORD src1_sel:WORD_1
	v_fma_f16 v12, v13, v5, -v12
	v_mul_f16_sdwa v5, v13, v5 dst_sel:DWORD dst_unused:UNUSED_PAD src0_sel:WORD_1 src1_sel:DWORD
	v_fma_f16 v5, v34, v13, v5
	v_mul_f16_sdwa v13, v37, v14 dst_sel:DWORD dst_unused:UNUSED_PAD src0_sel:DWORD src1_sel:WORD_1
	v_fma_f16 v13, v24, v14, -v13
	v_mul_f16_sdwa v24, v24, v14 dst_sel:DWORD dst_unused:UNUSED_PAD src0_sel:DWORD src1_sel:WORD_1
	v_fma_f16 v14, v37, v14, v24
	v_mul_f16_sdwa v24, v38, v15 dst_sel:DWORD dst_unused:UNUSED_PAD src0_sel:DWORD src1_sel:WORD_1
	v_fma_f16 v24, v27, v15, -v24
	v_mul_f16_sdwa v27, v27, v15 dst_sel:DWORD dst_unused:UNUSED_PAD src0_sel:DWORD src1_sel:WORD_1
	;; [unrolled: 4-line block ×5, first 2 shown]
	v_fma_f16 v18, v42, v18, v25
	v_mul_f16_sdwa v25, v43, v19 dst_sel:DWORD dst_unused:UNUSED_PAD src0_sel:DWORD src1_sel:WORD_1
	v_add_f16_e32 v31, v45, v10
	v_fma_f16 v25, v30, v19, -v25
	v_mul_f16_sdwa v30, v30, v19 dst_sel:DWORD dst_unused:UNUSED_PAD src0_sel:DWORD src1_sel:WORD_1
	v_fma_f16 v31, v31, -0.5, v32
	v_sub_f16_e32 v34, v4, v11
	v_fma_f16 v19, v43, v19, v30
	v_mul_f16_sdwa v30, v44, v20 dst_sel:DWORD dst_unused:UNUSED_PAD src0_sel:DWORD src1_sel:WORD_1
	v_fma_f16 v37, v34, s0, v31
	v_sub_f16_e32 v38, v8, v9
	v_sub_f16_e32 v39, v46, v45
	;; [unrolled: 1-line block ×3, first 2 shown]
	v_fma_f16 v31, v34, s3, v31
	v_fma_f16 v30, v29, v20, -v30
	v_mul_f16_sdwa v29, v29, v20 dst_sel:DWORD dst_unused:UNUSED_PAD src0_sel:DWORD src1_sel:WORD_1
	v_fma_f16 v37, v38, s1, v37
	v_add_f16_e32 v39, v39, v41
	v_fma_f16 v31, v38, s4, v31
	v_fma_f16 v20, v44, v20, v29
	v_add_f16_e32 v29, v32, v46
	v_fma_f16 v37, v39, s2, v37
	v_fma_f16 v31, v39, s2, v31
	v_add_f16_e32 v39, v46, v26
	v_add_f16_e32 v29, v29, v45
	v_fma_f16 v32, v39, -0.5, v32
	v_add_f16_e32 v29, v29, v10
	v_fma_f16 v39, v38, s3, v32
	v_sub_f16_e32 v41, v45, v46
	v_sub_f16_e32 v42, v10, v26
	v_fma_f16 v32, v38, s0, v32
	v_add_f16_e32 v38, v8, v9
	v_add_f16_e32 v29, v29, v26
	v_fma_f16 v39, v34, s1, v39
	v_add_f16_e32 v41, v41, v42
	v_fma_f16 v32, v34, s4, v32
	v_fma_f16 v38, v38, -0.5, v35
	v_sub_f16_e32 v26, v46, v26
	v_fma_f16 v39, v41, s2, v39
	v_fma_f16 v32, v41, s2, v32
	;; [unrolled: 1-line block ×3, first 2 shown]
	v_sub_f16_e32 v10, v45, v10
	v_sub_f16_e32 v42, v4, v8
	;; [unrolled: 1-line block ×3, first 2 shown]
	v_fma_f16 v38, v26, s0, v38
	v_fma_f16 v41, v10, s4, v41
	v_add_f16_e32 v42, v42, v43
	v_fma_f16 v38, v10, s1, v38
	v_add_f16_e32 v34, v35, v4
	v_fma_f16 v41, v42, s2, v41
	v_fma_f16 v38, v42, s2, v38
	v_add_f16_e32 v42, v4, v11
	v_add_f16_e32 v34, v34, v8
	v_fma_f16 v35, v42, -0.5, v35
	v_add_f16_e32 v34, v34, v9
	v_fma_f16 v42, v10, s0, v35
	v_sub_f16_e32 v4, v8, v4
	v_sub_f16_e32 v8, v9, v11
	v_fma_f16 v9, v10, s3, v35
	v_add_f16_e32 v10, v13, v24
	v_add_f16_e32 v34, v34, v11
	v_fma_f16 v42, v26, s4, v42
	v_add_f16_e32 v4, v4, v8
	v_fma_f16 v10, v10, -0.5, v21
	v_sub_f16_e32 v11, v5, v16
	v_fma_f16 v8, v4, s2, v42
	v_fma_f16 v9, v26, s1, v9
	;; [unrolled: 1-line block ×3, first 2 shown]
	v_sub_f16_e32 v35, v14, v15
	v_sub_f16_e32 v42, v12, v13
	;; [unrolled: 1-line block ×3, first 2 shown]
	v_fma_f16 v10, v11, s3, v10
	v_fma_f16 v26, v35, s1, v26
	v_add_f16_e32 v42, v42, v43
	v_fma_f16 v10, v35, s4, v10
	v_fma_f16 v26, v42, s2, v26
	;; [unrolled: 1-line block ×3, first 2 shown]
	v_add_f16_e32 v42, v12, v27
	v_fma_f16 v4, v4, s2, v9
	v_add_f16_e32 v9, v21, v12
	v_fma_f16 v21, v42, -0.5, v21
	v_add_f16_e32 v9, v9, v13
	v_fma_f16 v42, v35, s3, v21
	v_fma_f16 v21, v35, s0, v21
	v_add_f16_e32 v35, v14, v15
	v_add_f16_e32 v9, v9, v24
	v_sub_f16_e32 v43, v13, v12
	v_sub_f16_e32 v44, v24, v27
	v_fma_f16 v35, v35, -0.5, v36
	v_sub_f16_e32 v12, v12, v27
	v_add_f16_e32 v9, v9, v27
	v_fma_f16 v42, v11, s1, v42
	v_add_f16_e32 v43, v43, v44
	v_fma_f16 v11, v11, s4, v21
	v_fma_f16 v27, v12, s3, v35
	v_sub_f16_e32 v13, v13, v24
	v_fma_f16 v42, v43, s2, v42
	v_fma_f16 v11, v43, s2, v11
	v_fma_f16 v24, v13, s4, v27
	v_sub_f16_e32 v27, v5, v14
	v_sub_f16_e32 v43, v16, v15
	v_fma_f16 v35, v12, s0, v35
	v_add_f16_e32 v27, v27, v43
	v_fma_f16 v35, v13, s1, v35
	v_fma_f16 v24, v27, s2, v24
	;; [unrolled: 1-line block ×3, first 2 shown]
	v_add_f16_e32 v35, v5, v16
	v_fma_f16 v35, v35, -0.5, v36
	v_add_f16_e32 v21, v36, v5
	v_fma_f16 v36, v13, s0, v35
	v_fma_f16 v13, v13, s3, v35
	v_add_f16_e32 v21, v21, v14
	v_fma_f16 v36, v12, s4, v36
	v_sub_f16_e32 v5, v14, v5
	v_sub_f16_e32 v14, v15, v16
	v_fma_f16 v12, v12, s1, v13
	v_add_f16_e32 v13, v17, v25
	v_add_f16_e32 v21, v21, v15
	;; [unrolled: 1-line block ×3, first 2 shown]
	v_fma_f16 v13, v13, -0.5, v22
	v_sub_f16_e32 v15, v7, v20
	v_add_f16_e32 v21, v21, v16
	v_fma_f16 v14, v5, s2, v36
	v_fma_f16 v16, v15, s0, v13
	v_sub_f16_e32 v35, v18, v19
	v_sub_f16_e32 v36, v28, v17
	;; [unrolled: 1-line block ×3, first 2 shown]
	v_fma_f16 v13, v15, s3, v13
	v_fma_f16 v16, v35, s1, v16
	v_add_f16_e32 v36, v36, v43
	v_fma_f16 v13, v35, s4, v13
	v_fma_f16 v16, v36, s2, v16
	;; [unrolled: 1-line block ×3, first 2 shown]
	v_add_f16_e32 v36, v28, v30
	v_fma_f16 v5, v5, s2, v12
	v_add_f16_e32 v12, v22, v28
	v_fma_f16 v22, v36, -0.5, v22
	v_add_f16_e32 v12, v12, v17
	v_fma_f16 v36, v35, s3, v22
	v_fma_f16 v22, v35, s0, v22
	v_add_f16_e32 v35, v18, v19
	v_add_f16_e32 v12, v12, v25
	v_sub_f16_e32 v43, v17, v28
	v_sub_f16_e32 v44, v25, v30
	v_fma_f16 v35, v35, -0.5, v40
	v_sub_f16_e32 v28, v28, v30
	v_add_f16_e32 v12, v12, v30
	v_fma_f16 v36, v15, s1, v36
	v_add_f16_e32 v43, v43, v44
	v_fma_f16 v15, v15, s4, v22
	v_fma_f16 v30, v28, s3, v35
	v_sub_f16_e32 v17, v17, v25
	v_fma_f16 v36, v43, s2, v36
	v_fma_f16 v15, v43, s2, v15
	;; [unrolled: 1-line block ×3, first 2 shown]
	v_sub_f16_e32 v30, v7, v18
	v_sub_f16_e32 v43, v20, v19
	v_fma_f16 v35, v28, s0, v35
	v_add_f16_e32 v30, v30, v43
	v_fma_f16 v35, v17, s1, v35
	v_add_f16_e32 v22, v40, v7
	v_fma_f16 v25, v30, s2, v25
	v_fma_f16 v30, v30, s2, v35
	v_add_f16_e32 v35, v7, v20
	v_add_f16_e32 v22, v22, v18
	v_fma_f16 v35, v35, -0.5, v40
	v_add_f16_e32 v22, v22, v19
	v_fma_f16 v40, v17, s0, v35
	v_sub_f16_e32 v7, v18, v7
	v_sub_f16_e32 v18, v19, v20
	v_fma_f16 v17, v17, s3, v35
	v_pack_b32_f16 v8, v39, v8
	v_pack_b32_f16 v4, v32, v4
	v_add_f16_e32 v22, v22, v20
	v_fma_f16 v40, v28, s4, v40
	v_add_f16_e32 v7, v7, v18
	v_fma_f16 v17, v28, s1, v17
	ds_write2_b32 v6, v8, v4 offset0:76 offset1:178
	v_pack_b32_f16 v4, v31, v38
	v_fma_f16 v18, v7, s2, v40
	v_fma_f16 v7, v7, s2, v17
	v_pack_b32_f16 v17, v29, v34
	v_pack_b32_f16 v19, v37, v41
	ds_write_b32 v1, v4 offset:1632
	v_pack_b32_f16 v4, v9, v21
	v_pack_b32_f16 v9, v12, v22
	ds_write2_b32 v1, v17, v4 offset1:34
	v_pack_b32_f16 v4, v26, v24
	ds_write2_b32 v1, v9, v19 offset0:68 offset1:102
	v_pack_b32_f16 v1, v16, v25
	v_pack_b32_f16 v6, v42, v14
	ds_write2_b32 v33, v4, v1 offset0:136 offset1:170
	v_pack_b32_f16 v1, v36, v18
	v_add_u32_e32 v4, 0x200, v33
	v_pack_b32_f16 v5, v11, v5
	ds_write2_b32 v4, v6, v1 offset0:110 offset1:144
	v_pack_b32_f16 v1, v15, v7
	v_add_u32_e32 v4, 0x400, v33
	v_pack_b32_f16 v8, v10, v27
	ds_write2_b32 v4, v5, v1 offset0:84 offset1:118
	v_pack_b32_f16 v1, v13, v30
	ds_write2_b32 v4, v8, v1 offset0:186 offset1:220
	s_waitcnt lgkmcnt(0)
	s_barrier
	s_and_saveexec_b64 s[0:1], vcc
	s_cbranch_execz .LBB0_26
; %bb.25:
	v_lshl_add_u32 v6, v0, 2, v23
	v_mov_b32_e32 v1, 0
	ds_read2_b32 v[4:5], v6 offset1:34
	v_mov_b32_e32 v7, s13
	v_add_co_u32_e32 v8, vcc, s12, v2
	v_addc_co_u32_e32 v7, vcc, v7, v3, vcc
	v_lshlrev_b64 v[2:3], 2, v[0:1]
	v_add_u32_e32 v9, 0x400, v6
	v_add_co_u32_e32 v2, vcc, v8, v2
	v_addc_co_u32_e32 v3, vcc, v7, v3, vcc
	s_waitcnt lgkmcnt(0)
	global_store_dword v[2:3], v4, off
	v_add_u32_e32 v2, 34, v0
	v_mov_b32_e32 v3, v1
	v_lshlrev_b64 v[2:3], 2, v[2:3]
	v_add_co_u32_e32 v2, vcc, v8, v2
	v_addc_co_u32_e32 v3, vcc, v7, v3, vcc
	global_store_dword v[2:3], v5, off
	v_add_u32_e32 v2, 0x44, v0
	v_mov_b32_e32 v3, v1
	ds_read2_b32 v[4:5], v6 offset0:68 offset1:102
	v_lshlrev_b64 v[2:3], 2, v[2:3]
	v_add_co_u32_e32 v2, vcc, v8, v2
	v_addc_co_u32_e32 v3, vcc, v7, v3, vcc
	s_waitcnt lgkmcnt(0)
	global_store_dword v[2:3], v4, off
	v_add_u32_e32 v2, 0x66, v0
	v_mov_b32_e32 v3, v1
	v_lshlrev_b64 v[2:3], 2, v[2:3]
	v_add_co_u32_e32 v2, vcc, v8, v2
	v_addc_co_u32_e32 v3, vcc, v7, v3, vcc
	global_store_dword v[2:3], v5, off
	v_add_u32_e32 v2, 0x88, v0
	v_mov_b32_e32 v3, v1
	ds_read2_b32 v[4:5], v6 offset0:136 offset1:170
	v_lshlrev_b64 v[2:3], 2, v[2:3]
	;; [unrolled: 14-line block ×6, first 2 shown]
	v_add_co_u32_e32 v2, vcc, v8, v2
	v_addc_co_u32_e32 v3, vcc, v7, v3, vcc
	s_waitcnt lgkmcnt(0)
	global_store_dword v[2:3], v4, off
	v_add_u32_e32 v2, 0x1ba, v0
	v_mov_b32_e32 v3, v1
	v_lshlrev_b64 v[2:3], 2, v[2:3]
	v_add_u32_e32 v0, 0x1dc, v0
	v_add_co_u32_e32 v2, vcc, v8, v2
	v_addc_co_u32_e32 v3, vcc, v7, v3, vcc
	global_store_dword v[2:3], v5, off
	ds_read_b32 v2, v6 offset:1904
	v_lshlrev_b64 v[0:1], 2, v[0:1]
	v_add_co_u32_e32 v0, vcc, v8, v0
	v_addc_co_u32_e32 v1, vcc, v7, v1, vcc
	s_waitcnt lgkmcnt(0)
	global_store_dword v[0:1], v2, off
.LBB0_26:
	s_endpgm
	.section	.rodata,"a",@progbits
	.p2align	6, 0x0
	.amdhsa_kernel fft_rtc_fwd_len510_factors_17_2_3_5_wgs_238_tpt_34_halfLds_half_ip_CI_unitstride_sbrr_C2R_dirReg
		.amdhsa_group_segment_fixed_size 0
		.amdhsa_private_segment_fixed_size 0
		.amdhsa_kernarg_size 88
		.amdhsa_user_sgpr_count 6
		.amdhsa_user_sgpr_private_segment_buffer 1
		.amdhsa_user_sgpr_dispatch_ptr 0
		.amdhsa_user_sgpr_queue_ptr 0
		.amdhsa_user_sgpr_kernarg_segment_ptr 1
		.amdhsa_user_sgpr_dispatch_id 0
		.amdhsa_user_sgpr_flat_scratch_init 0
		.amdhsa_user_sgpr_private_segment_size 0
		.amdhsa_uses_dynamic_stack 0
		.amdhsa_system_sgpr_private_segment_wavefront_offset 0
		.amdhsa_system_sgpr_workgroup_id_x 1
		.amdhsa_system_sgpr_workgroup_id_y 0
		.amdhsa_system_sgpr_workgroup_id_z 0
		.amdhsa_system_sgpr_workgroup_info 0
		.amdhsa_system_vgpr_workitem_id 0
		.amdhsa_next_free_vgpr 160
		.amdhsa_next_free_sgpr 39
		.amdhsa_reserve_vcc 1
		.amdhsa_reserve_flat_scratch 0
		.amdhsa_float_round_mode_32 0
		.amdhsa_float_round_mode_16_64 0
		.amdhsa_float_denorm_mode_32 3
		.amdhsa_float_denorm_mode_16_64 3
		.amdhsa_dx10_clamp 1
		.amdhsa_ieee_mode 1
		.amdhsa_fp16_overflow 0
		.amdhsa_exception_fp_ieee_invalid_op 0
		.amdhsa_exception_fp_denorm_src 0
		.amdhsa_exception_fp_ieee_div_zero 0
		.amdhsa_exception_fp_ieee_overflow 0
		.amdhsa_exception_fp_ieee_underflow 0
		.amdhsa_exception_fp_ieee_inexact 0
		.amdhsa_exception_int_div_zero 0
	.end_amdhsa_kernel
	.text
.Lfunc_end0:
	.size	fft_rtc_fwd_len510_factors_17_2_3_5_wgs_238_tpt_34_halfLds_half_ip_CI_unitstride_sbrr_C2R_dirReg, .Lfunc_end0-fft_rtc_fwd_len510_factors_17_2_3_5_wgs_238_tpt_34_halfLds_half_ip_CI_unitstride_sbrr_C2R_dirReg
                                        ; -- End function
	.section	.AMDGPU.csdata,"",@progbits
; Kernel info:
; codeLenInByte = 12880
; NumSgprs: 43
; NumVgprs: 160
; ScratchSize: 0
; MemoryBound: 0
; FloatMode: 240
; IeeeMode: 1
; LDSByteSize: 0 bytes/workgroup (compile time only)
; SGPRBlocks: 5
; VGPRBlocks: 39
; NumSGPRsForWavesPerEU: 43
; NumVGPRsForWavesPerEU: 160
; Occupancy: 1
; WaveLimiterHint : 1
; COMPUTE_PGM_RSRC2:SCRATCH_EN: 0
; COMPUTE_PGM_RSRC2:USER_SGPR: 6
; COMPUTE_PGM_RSRC2:TRAP_HANDLER: 0
; COMPUTE_PGM_RSRC2:TGID_X_EN: 1
; COMPUTE_PGM_RSRC2:TGID_Y_EN: 0
; COMPUTE_PGM_RSRC2:TGID_Z_EN: 0
; COMPUTE_PGM_RSRC2:TIDIG_COMP_CNT: 0
	.type	__hip_cuid_2168662b49615e54,@object ; @__hip_cuid_2168662b49615e54
	.section	.bss,"aw",@nobits
	.globl	__hip_cuid_2168662b49615e54
__hip_cuid_2168662b49615e54:
	.byte	0                               ; 0x0
	.size	__hip_cuid_2168662b49615e54, 1

	.ident	"AMD clang version 19.0.0git (https://github.com/RadeonOpenCompute/llvm-project roc-6.4.0 25133 c7fe45cf4b819c5991fe208aaa96edf142730f1d)"
	.section	".note.GNU-stack","",@progbits
	.addrsig
	.addrsig_sym __hip_cuid_2168662b49615e54
	.amdgpu_metadata
---
amdhsa.kernels:
  - .args:
      - .actual_access:  read_only
        .address_space:  global
        .offset:         0
        .size:           8
        .value_kind:     global_buffer
      - .offset:         8
        .size:           8
        .value_kind:     by_value
      - .actual_access:  read_only
        .address_space:  global
        .offset:         16
        .size:           8
        .value_kind:     global_buffer
      - .actual_access:  read_only
        .address_space:  global
        .offset:         24
        .size:           8
        .value_kind:     global_buffer
      - .offset:         32
        .size:           8
        .value_kind:     by_value
      - .actual_access:  read_only
        .address_space:  global
        .offset:         40
        .size:           8
        .value_kind:     global_buffer
      - .actual_access:  read_only
        .address_space:  global
        .offset:         48
        .size:           8
        .value_kind:     global_buffer
      - .offset:         56
        .size:           4
        .value_kind:     by_value
      - .actual_access:  read_only
        .address_space:  global
        .offset:         64
        .size:           8
        .value_kind:     global_buffer
      - .actual_access:  read_only
        .address_space:  global
        .offset:         72
        .size:           8
        .value_kind:     global_buffer
      - .address_space:  global
        .offset:         80
        .size:           8
        .value_kind:     global_buffer
    .group_segment_fixed_size: 0
    .kernarg_segment_align: 8
    .kernarg_segment_size: 88
    .language:       OpenCL C
    .language_version:
      - 2
      - 0
    .max_flat_workgroup_size: 238
    .name:           fft_rtc_fwd_len510_factors_17_2_3_5_wgs_238_tpt_34_halfLds_half_ip_CI_unitstride_sbrr_C2R_dirReg
    .private_segment_fixed_size: 0
    .sgpr_count:     43
    .sgpr_spill_count: 0
    .symbol:         fft_rtc_fwd_len510_factors_17_2_3_5_wgs_238_tpt_34_halfLds_half_ip_CI_unitstride_sbrr_C2R_dirReg.kd
    .uniform_work_group_size: 1
    .uses_dynamic_stack: false
    .vgpr_count:     160
    .vgpr_spill_count: 0
    .wavefront_size: 64
amdhsa.target:   amdgcn-amd-amdhsa--gfx906
amdhsa.version:
  - 1
  - 2
...

	.end_amdgpu_metadata
